;; amdgpu-corpus repo=ROCm/rocFFT kind=compiled arch=gfx1030 opt=O3
	.text
	.amdgcn_target "amdgcn-amd-amdhsa--gfx1030"
	.amdhsa_code_object_version 6
	.protected	fft_rtc_back_len3200_factors_10_10_4_4_2_wgs_160_tpt_160_halfLds_sp_op_CI_CI_sbrr_dirReg ; -- Begin function fft_rtc_back_len3200_factors_10_10_4_4_2_wgs_160_tpt_160_halfLds_sp_op_CI_CI_sbrr_dirReg
	.globl	fft_rtc_back_len3200_factors_10_10_4_4_2_wgs_160_tpt_160_halfLds_sp_op_CI_CI_sbrr_dirReg
	.p2align	8
	.type	fft_rtc_back_len3200_factors_10_10_4_4_2_wgs_160_tpt_160_halfLds_sp_op_CI_CI_sbrr_dirReg,@function
fft_rtc_back_len3200_factors_10_10_4_4_2_wgs_160_tpt_160_halfLds_sp_op_CI_CI_sbrr_dirReg: ; @fft_rtc_back_len3200_factors_10_10_4_4_2_wgs_160_tpt_160_halfLds_sp_op_CI_CI_sbrr_dirReg
; %bb.0:
	s_clause 0x2
	s_load_dwordx4 s[16:19], s[4:5], 0x18
	s_load_dwordx4 s[12:15], s[4:5], 0x0
	;; [unrolled: 1-line block ×3, first 2 shown]
	v_mul_u32_u24_e32 v2, 0x19a, v0
	v_mov_b32_e32 v1, 0
	v_mov_b32_e32 v56, 0
	;; [unrolled: 1-line block ×3, first 2 shown]
	s_waitcnt lgkmcnt(0)
	s_load_dwordx2 s[20:21], s[16:17], 0x0
	s_load_dwordx2 s[2:3], s[18:19], 0x0
	v_cmp_lt_u64_e64 s0, s[14:15], 2
	v_add_nc_u32_sdwa v7, s6, v2 dst_sel:DWORD dst_unused:UNUSED_PAD src0_sel:DWORD src1_sel:WORD_1
	v_mov_b32_e32 v8, v1
	s_and_b32 vcc_lo, exec_lo, s0
	s_cbranch_vccnz .LBB0_8
; %bb.1:
	s_load_dwordx2 s[0:1], s[4:5], 0x10
	v_mov_b32_e32 v56, 0
	v_mov_b32_e32 v57, 0
	s_add_u32 s6, s18, 8
	s_addc_u32 s7, s19, 0
	v_mov_b32_e32 v3, v56
	s_add_u32 s22, s16, 8
	v_mov_b32_e32 v4, v57
	s_addc_u32 s23, s17, 0
	s_mov_b64 s[26:27], 1
	s_waitcnt lgkmcnt(0)
	s_add_u32 s24, s0, 8
	s_addc_u32 s25, s1, 0
.LBB0_2:                                ; =>This Inner Loop Header: Depth=1
	s_load_dwordx2 s[28:29], s[24:25], 0x0
                                        ; implicit-def: $vgpr5_vgpr6
	s_mov_b32 s0, exec_lo
	s_waitcnt lgkmcnt(0)
	v_or_b32_e32 v2, s29, v8
	v_cmpx_ne_u64_e32 0, v[1:2]
	s_xor_b32 s1, exec_lo, s0
	s_cbranch_execz .LBB0_4
; %bb.3:                                ;   in Loop: Header=BB0_2 Depth=1
	v_cvt_f32_u32_e32 v2, s28
	v_cvt_f32_u32_e32 v5, s29
	s_sub_u32 s0, 0, s28
	s_subb_u32 s30, 0, s29
	v_fmac_f32_e32 v2, 0x4f800000, v5
	v_rcp_f32_e32 v2, v2
	v_mul_f32_e32 v2, 0x5f7ffffc, v2
	v_mul_f32_e32 v5, 0x2f800000, v2
	v_trunc_f32_e32 v5, v5
	v_fmac_f32_e32 v2, 0xcf800000, v5
	v_cvt_u32_f32_e32 v5, v5
	v_cvt_u32_f32_e32 v2, v2
	v_mul_lo_u32 v6, s0, v5
	v_mul_hi_u32 v9, s0, v2
	v_mul_lo_u32 v10, s30, v2
	v_add_nc_u32_e32 v6, v9, v6
	v_mul_lo_u32 v9, s0, v2
	v_add_nc_u32_e32 v6, v6, v10
	v_mul_hi_u32 v10, v2, v9
	v_mul_lo_u32 v11, v2, v6
	v_mul_hi_u32 v12, v2, v6
	v_mul_hi_u32 v13, v5, v9
	v_mul_lo_u32 v9, v5, v9
	v_mul_hi_u32 v14, v5, v6
	v_mul_lo_u32 v6, v5, v6
	v_add_co_u32 v10, vcc_lo, v10, v11
	v_add_co_ci_u32_e32 v11, vcc_lo, 0, v12, vcc_lo
	v_add_co_u32 v9, vcc_lo, v10, v9
	v_add_co_ci_u32_e32 v9, vcc_lo, v11, v13, vcc_lo
	v_add_co_ci_u32_e32 v10, vcc_lo, 0, v14, vcc_lo
	v_add_co_u32 v6, vcc_lo, v9, v6
	v_add_co_ci_u32_e32 v9, vcc_lo, 0, v10, vcc_lo
	v_add_co_u32 v2, vcc_lo, v2, v6
	v_add_co_ci_u32_e32 v5, vcc_lo, v5, v9, vcc_lo
	v_mul_hi_u32 v6, s0, v2
	v_mul_lo_u32 v10, s30, v2
	v_mul_lo_u32 v9, s0, v5
	v_add_nc_u32_e32 v6, v6, v9
	v_mul_lo_u32 v9, s0, v2
	v_add_nc_u32_e32 v6, v6, v10
	v_mul_hi_u32 v10, v2, v9
	v_mul_lo_u32 v11, v2, v6
	v_mul_hi_u32 v12, v2, v6
	v_mul_hi_u32 v13, v5, v9
	v_mul_lo_u32 v9, v5, v9
	v_mul_hi_u32 v14, v5, v6
	v_mul_lo_u32 v6, v5, v6
	v_add_co_u32 v10, vcc_lo, v10, v11
	v_add_co_ci_u32_e32 v11, vcc_lo, 0, v12, vcc_lo
	v_add_co_u32 v9, vcc_lo, v10, v9
	v_add_co_ci_u32_e32 v9, vcc_lo, v11, v13, vcc_lo
	v_add_co_ci_u32_e32 v10, vcc_lo, 0, v14, vcc_lo
	v_add_co_u32 v6, vcc_lo, v9, v6
	v_add_co_ci_u32_e32 v9, vcc_lo, 0, v10, vcc_lo
	v_add_co_u32 v2, vcc_lo, v2, v6
	v_add_co_ci_u32_e32 v11, vcc_lo, v5, v9, vcc_lo
	v_mul_hi_u32 v13, v7, v2
	v_mad_u64_u32 v[9:10], null, v8, v2, 0
	v_mad_u64_u32 v[5:6], null, v7, v11, 0
	v_mad_u64_u32 v[11:12], null, v8, v11, 0
	v_add_co_u32 v2, vcc_lo, v13, v5
	v_add_co_ci_u32_e32 v5, vcc_lo, 0, v6, vcc_lo
	v_add_co_u32 v2, vcc_lo, v2, v9
	v_add_co_ci_u32_e32 v2, vcc_lo, v5, v10, vcc_lo
	v_add_co_ci_u32_e32 v5, vcc_lo, 0, v12, vcc_lo
	v_add_co_u32 v2, vcc_lo, v2, v11
	v_add_co_ci_u32_e32 v9, vcc_lo, 0, v5, vcc_lo
	v_mul_lo_u32 v10, s29, v2
	v_mad_u64_u32 v[5:6], null, s28, v2, 0
	v_mul_lo_u32 v11, s28, v9
	v_sub_co_u32 v5, vcc_lo, v7, v5
	v_add3_u32 v6, v6, v11, v10
	v_sub_nc_u32_e32 v10, v8, v6
	v_subrev_co_ci_u32_e64 v10, s0, s29, v10, vcc_lo
	v_add_co_u32 v11, s0, v2, 2
	v_add_co_ci_u32_e64 v12, s0, 0, v9, s0
	v_sub_co_u32 v13, s0, v5, s28
	v_sub_co_ci_u32_e32 v6, vcc_lo, v8, v6, vcc_lo
	v_subrev_co_ci_u32_e64 v10, s0, 0, v10, s0
	v_cmp_le_u32_e32 vcc_lo, s28, v13
	v_cmp_eq_u32_e64 s0, s29, v6
	v_cndmask_b32_e64 v13, 0, -1, vcc_lo
	v_cmp_le_u32_e32 vcc_lo, s29, v10
	v_cndmask_b32_e64 v14, 0, -1, vcc_lo
	v_cmp_le_u32_e32 vcc_lo, s28, v5
	;; [unrolled: 2-line block ×3, first 2 shown]
	v_cndmask_b32_e64 v15, 0, -1, vcc_lo
	v_cmp_eq_u32_e32 vcc_lo, s29, v10
	v_cndmask_b32_e64 v5, v15, v5, s0
	v_cndmask_b32_e32 v10, v14, v13, vcc_lo
	v_add_co_u32 v13, vcc_lo, v2, 1
	v_add_co_ci_u32_e32 v14, vcc_lo, 0, v9, vcc_lo
	v_cmp_ne_u32_e32 vcc_lo, 0, v10
	v_cndmask_b32_e32 v6, v14, v12, vcc_lo
	v_cndmask_b32_e32 v10, v13, v11, vcc_lo
	v_cmp_ne_u32_e32 vcc_lo, 0, v5
	v_cndmask_b32_e32 v6, v9, v6, vcc_lo
	v_cndmask_b32_e32 v5, v2, v10, vcc_lo
.LBB0_4:                                ;   in Loop: Header=BB0_2 Depth=1
	s_andn2_saveexec_b32 s0, s1
	s_cbranch_execz .LBB0_6
; %bb.5:                                ;   in Loop: Header=BB0_2 Depth=1
	v_cvt_f32_u32_e32 v2, s28
	s_sub_i32 s1, 0, s28
	v_rcp_iflag_f32_e32 v2, v2
	v_mul_f32_e32 v2, 0x4f7ffffe, v2
	v_cvt_u32_f32_e32 v2, v2
	v_mul_lo_u32 v5, s1, v2
	v_mul_hi_u32 v5, v2, v5
	v_add_nc_u32_e32 v2, v2, v5
	v_mul_hi_u32 v2, v7, v2
	v_mul_lo_u32 v5, v2, s28
	v_add_nc_u32_e32 v6, 1, v2
	v_sub_nc_u32_e32 v5, v7, v5
	v_subrev_nc_u32_e32 v9, s28, v5
	v_cmp_le_u32_e32 vcc_lo, s28, v5
	v_cndmask_b32_e32 v5, v5, v9, vcc_lo
	v_cndmask_b32_e32 v2, v2, v6, vcc_lo
	v_cmp_le_u32_e32 vcc_lo, s28, v5
	v_add_nc_u32_e32 v6, 1, v2
	v_cndmask_b32_e32 v5, v2, v6, vcc_lo
	v_mov_b32_e32 v6, v1
.LBB0_6:                                ;   in Loop: Header=BB0_2 Depth=1
	s_or_b32 exec_lo, exec_lo, s0
	v_mul_lo_u32 v2, v6, s28
	v_mul_lo_u32 v11, v5, s29
	s_load_dwordx2 s[0:1], s[22:23], 0x0
	v_mad_u64_u32 v[9:10], null, v5, s28, 0
	s_load_dwordx2 s[28:29], s[6:7], 0x0
	s_add_u32 s26, s26, 1
	s_addc_u32 s27, s27, 0
	s_add_u32 s6, s6, 8
	s_addc_u32 s7, s7, 0
	s_add_u32 s22, s22, 8
	v_add3_u32 v2, v10, v11, v2
	v_sub_co_u32 v7, vcc_lo, v7, v9
	s_addc_u32 s23, s23, 0
	s_add_u32 s24, s24, 8
	v_sub_co_ci_u32_e32 v2, vcc_lo, v8, v2, vcc_lo
	s_addc_u32 s25, s25, 0
	s_waitcnt lgkmcnt(0)
	v_mul_lo_u32 v8, s0, v2
	v_mul_lo_u32 v9, s1, v7
	v_mad_u64_u32 v[56:57], null, s0, v7, v[56:57]
	v_mul_lo_u32 v2, s28, v2
	v_mul_lo_u32 v10, s29, v7
	v_mad_u64_u32 v[3:4], null, s28, v7, v[3:4]
	v_cmp_ge_u64_e64 s0, s[26:27], s[14:15]
	v_add3_u32 v57, v9, v57, v8
	v_add3_u32 v4, v10, v4, v2
	s_and_b32 vcc_lo, exec_lo, s0
	s_cbranch_vccnz .LBB0_9
; %bb.7:                                ;   in Loop: Header=BB0_2 Depth=1
	v_mov_b32_e32 v8, v6
	v_mov_b32_e32 v7, v5
	s_branch .LBB0_2
.LBB0_8:
	v_mov_b32_e32 v3, v56
	v_mov_b32_e32 v5, v7
	;; [unrolled: 1-line block ×4, first 2 shown]
.LBB0_9:
	s_load_dwordx2 s[0:1], s[4:5], 0x28
	v_mul_hi_u32 v2, 0x199999a, v0
	s_lshl_b64 s[6:7], s[14:15], 3
                                        ; implicit-def: $vgpr1
                                        ; implicit-def: $vgpr10
                                        ; implicit-def: $vgpr7
                                        ; implicit-def: $vgpr8
                                        ; implicit-def: $vgpr11
                                        ; implicit-def: $vgpr12
                                        ; implicit-def: $vgpr15
                                        ; implicit-def: $vgpr14
                                        ; implicit-def: $vgpr16
                                        ; implicit-def: $vgpr17
	s_add_u32 s4, s18, s6
	s_addc_u32 s5, s19, s7
	s_waitcnt lgkmcnt(0)
	v_cmp_gt_u64_e32 vcc_lo, s[0:1], v[5:6]
	v_cmp_le_u64_e64 s0, s[0:1], v[5:6]
	s_and_saveexec_b32 s1, s0
	s_xor_b32 s0, exec_lo, s1
; %bb.10:
	v_mul_u32_u24_e32 v1, 0xa0, v2
                                        ; implicit-def: $vgpr2
                                        ; implicit-def: $vgpr56_vgpr57
	v_sub_nc_u32_e32 v1, v0, v1
                                        ; implicit-def: $vgpr0
	v_add_nc_u32_e32 v10, 0xa0, v1
	v_add_nc_u32_e32 v7, 0x140, v1
	;; [unrolled: 1-line block ×4, first 2 shown]
	v_or_b32_e32 v12, 0x500, v1
	v_add_nc_u32_e32 v15, 0x320, v1
	v_add_nc_u32_e32 v14, 0x1e0, v1
	;; [unrolled: 1-line block ×4, first 2 shown]
; %bb.11:
	s_or_saveexec_b32 s1, s0
                                        ; implicit-def: $vgpr31
                                        ; implicit-def: $vgpr39
                                        ; implicit-def: $vgpr45
                                        ; implicit-def: $vgpr49
                                        ; implicit-def: $vgpr51
                                        ; implicit-def: $vgpr47
                                        ; implicit-def: $vgpr41
                                        ; implicit-def: $vgpr43
                                        ; implicit-def: $vgpr19
                                        ; implicit-def: $vgpr23
                                        ; implicit-def: $vgpr55
                                        ; implicit-def: $vgpr33
                                        ; implicit-def: $vgpr25
                                        ; implicit-def: $vgpr35
                                        ; implicit-def: $vgpr29
                                        ; implicit-def: $vgpr27
                                        ; implicit-def: $vgpr37
                                        ; implicit-def: $vgpr21
                                        ; implicit-def: $vgpr53
                                        ; implicit-def: $vgpr58
	s_xor_b32 exec_lo, exec_lo, s1
	s_cbranch_execz .LBB0_13
; %bb.12:
	s_add_u32 s6, s16, s6
	s_addc_u32 s7, s17, s7
	v_mul_u32_u24_e32 v1, 0xa0, v2
	s_load_dwordx2 s[6:7], s[6:7], 0x0
	v_lshlrev_b64 v[13:14], 3, v[56:57]
	v_sub_nc_u32_e32 v1, v0, v1
	v_mad_u64_u32 v[9:10], null, s20, v1, 0
	v_add_nc_u32_e32 v8, 0x280, v1
	v_add_nc_u32_e32 v7, 0x140, v1
	;; [unrolled: 1-line block ×3, first 2 shown]
	v_or_b32_e32 v12, 0x500, v1
	v_mad_u64_u32 v[17:18], null, s20, v8, 0
	v_mov_b32_e32 v0, v10
	v_mad_u64_u32 v[15:16], null, s20, v7, 0
	s_waitcnt lgkmcnt(0)
	v_mul_lo_u32 v10, s7, v5
	v_mul_lo_u32 v24, s6, v6
	v_mad_u64_u32 v[19:20], null, s6, v5, 0
	v_mad_u64_u32 v[21:22], null, s21, v1, v[0:1]
	v_mov_b32_e32 v2, v18
	v_mad_u64_u32 v[22:23], null, s20, v11, 0
	v_mov_b32_e32 v0, v16
	v_add3_u32 v20, v20, v24, v10
	v_mov_b32_e32 v10, v21
	v_mad_u64_u32 v[24:25], null, s21, v7, v[0:1]
	v_lshlrev_b64 v[18:19], 3, v[19:20]
	v_mad_u64_u32 v[20:21], null, s21, v8, v[2:3]
	v_lshlrev_b64 v[9:10], 3, v[9:10]
	v_mov_b32_e32 v0, v23
	v_mad_u64_u32 v[25:26], null, s20, v12, 0
	v_add_co_u32 v2, s0, s8, v18
	v_add_co_ci_u32_e64 v19, s0, s9, v19, s0
	v_mov_b32_e32 v18, v20
	v_add_co_u32 v50, s0, v2, v13
	v_add_co_ci_u32_e64 v51, s0, v19, v14, s0
	v_add_nc_u32_e32 v2, 0x640, v1
	v_add_co_u32 v19, s0, v50, v9
	v_add_co_ci_u32_e64 v20, s0, v51, v10, s0
	v_mad_u64_u32 v[9:10], null, s21, v11, v[0:1]
	v_mov_b32_e32 v16, v24
	v_mov_b32_e32 v0, v26
	v_add_nc_u32_e32 v24, 0x780, v1
	v_lshlrev_b64 v[13:14], 3, v[15:16]
	v_mov_b32_e32 v23, v9
	v_mad_u64_u32 v[9:10], null, s20, v2, 0
	v_mad_u64_u32 v[15:16], null, s21, v12, v[0:1]
	v_add_co_u32 v27, s0, v50, v13
	v_add_co_ci_u32_e64 v28, s0, v51, v14, s0
	v_mov_b32_e32 v0, v10
	v_lshlrev_b64 v[13:14], 3, v[17:18]
	v_mov_b32_e32 v26, v15
	v_mad_u64_u32 v[15:16], null, s20, v24, 0
	v_mad_u64_u32 v[17:18], null, s21, v2, v[0:1]
	v_add_co_u32 v32, s0, v50, v13
	v_add_nc_u32_e32 v2, 0x8c0, v1
	v_add_co_ci_u32_e64 v33, s0, v51, v14, s0
	v_lshlrev_b64 v[13:14], 3, v[22:23]
	v_mov_b32_e32 v0, v16
	v_mov_b32_e32 v10, v17
	v_mad_u64_u32 v[17:18], null, s20, v2, 0
	v_add_co_u32 v21, s0, v50, v13
	v_mad_u64_u32 v[23:24], null, s21, v24, v[0:1]
	v_add_co_ci_u32_e64 v22, s0, v51, v14, s0
	v_lshlrev_b64 v[13:14], 3, v[25:26]
	v_or_b32_e32 v26, 0xa00, v1
	v_lshlrev_b64 v[9:10], 3, v[9:10]
	v_mov_b32_e32 v0, v18
	v_mov_b32_e32 v16, v23
	v_add_co_u32 v24, s0, v50, v13
	v_add_co_ci_u32_e64 v25, s0, v51, v14, s0
	v_mad_u64_u32 v[29:30], null, s20, v26, 0
	v_mad_u64_u32 v[13:14], null, s21, v2, v[0:1]
	v_add_nc_u32_e32 v2, 0xb40, v1
	v_add_co_u32 v34, s0, v50, v9
	v_add_co_ci_u32_e64 v35, s0, v51, v10, s0
	v_lshlrev_b64 v[9:10], 3, v[15:16]
	v_mad_u64_u32 v[15:16], null, s20, v2, 0
	v_mov_b32_e32 v0, v30
	v_mov_b32_e32 v18, v13
	v_add_co_u32 v36, s0, v50, v9
	v_add_co_ci_u32_e64 v37, s0, v51, v10, s0
	v_add_nc_u32_e32 v10, 0xa0, v1
	v_mad_u64_u32 v[13:14], null, s21, v26, v[0:1]
	v_mov_b32_e32 v0, v16
	v_add_nc_u32_e32 v14, 0x1e0, v1
	v_mad_u64_u32 v[38:39], null, s20, v10, 0
	v_lshlrev_b64 v[17:18], 3, v[17:18]
	v_mad_u64_u32 v[40:41], null, s21, v2, v[0:1]
	v_mad_u64_u32 v[41:42], null, s20, v14, 0
	v_mov_b32_e32 v30, v13
	v_mov_b32_e32 v0, v39
	v_add_co_u32 v52, s0, v50, v17
	v_mov_b32_e32 v16, v40
	v_add_co_ci_u32_e64 v53, s0, v51, v18, s0
	v_lshlrev_b64 v[17:18], 3, v[29:30]
	v_mov_b32_e32 v2, v42
	v_mad_u64_u32 v[29:30], null, s21, v10, v[0:1]
	v_lshlrev_b64 v[15:16], 3, v[15:16]
	v_add_nc_u32_e32 v9, 0x6e0, v1
	v_mad_u64_u32 v[30:31], null, s21, v14, v[2:3]
	v_add_co_u32 v54, s0, v50, v17
	v_add_co_ci_u32_e64 v55, s0, v51, v18, s0
	v_mov_b32_e32 v39, v29
	v_add_co_u32 v59, s0, v50, v15
	v_add_nc_u32_e32 v15, 0x320, v1
	v_add_co_ci_u32_e64 v60, s0, v51, v16, s0
	v_mov_b32_e32 v42, v30
	v_lshlrev_b64 v[29:30], 3, v[38:39]
	v_add_nc_u32_e32 v16, 0x460, v1
	v_mad_u64_u32 v[38:39], null, s20, v15, 0
	v_lshlrev_b64 v[40:41], 3, v[41:42]
	v_add_nc_u32_e32 v17, 0x5a0, v1
	v_mad_u64_u32 v[42:43], null, s20, v16, 0
	v_add_co_u32 v61, s0, v50, v29
	v_mov_b32_e32 v0, v39
	v_add_co_ci_u32_e64 v62, s0, v51, v30, s0
	v_add_co_u32 v63, s0, v50, v40
	v_mov_b32_e32 v2, v43
	v_mad_u64_u32 v[43:44], null, s21, v15, v[0:1]
	v_mad_u64_u32 v[44:45], null, s20, v9, 0
	;; [unrolled: 1-line block ×4, first 2 shown]
	v_mov_b32_e32 v39, v43
	v_add_co_ci_u32_e64 v64, s0, v51, v41, s0
	v_mov_b32_e32 v2, v45
	v_add_nc_u32_e32 v13, 0x960, v1
	v_lshlrev_b64 v[38:39], 3, v[38:39]
	v_mov_b32_e32 v43, v46
	v_mov_b32_e32 v0, v30
	v_mad_u64_u32 v[40:41], null, s21, v9, v[2:3]
	v_add_nc_u32_e32 v9, 0x820, v1
	v_add_co_u32 v65, s0, v50, v38
	v_add_co_ci_u32_e64 v66, s0, v51, v39, s0
	v_mad_u64_u32 v[46:47], null, s20, v9, 0
	v_mad_u64_u32 v[38:39], null, s20, v13, 0
	v_lshlrev_b64 v[41:42], 3, v[42:43]
	v_mad_u64_u32 v[30:31], null, s21, v17, v[0:1]
	v_mov_b32_e32 v45, v40
	v_mov_b32_e32 v0, v47
	v_add_nc_u32_e32 v18, 0xbe0, v1
	v_add_co_u32 v67, s0, v50, v41
	v_mov_b32_e32 v2, v39
	v_add_co_ci_u32_e64 v68, s0, v51, v42, s0
	v_mad_u64_u32 v[42:43], null, s21, v9, v[0:1]
	v_add_nc_u32_e32 v9, 0xaa0, v1
	v_lshlrev_b64 v[40:41], 3, v[44:45]
	v_mad_u64_u32 v[43:44], null, s21, v13, v[2:3]
	v_mad_u64_u32 v[48:49], null, s20, v18, 0
	;; [unrolled: 1-line block ×3, first 2 shown]
	v_lshlrev_b64 v[29:30], 3, v[29:30]
	v_mov_b32_e32 v47, v42
	v_mov_b32_e32 v39, v43
	;; [unrolled: 1-line block ×4, first 2 shown]
	v_add_co_u32 v69, s0, v50, v29
	v_add_co_ci_u32_e64 v70, s0, v51, v30, s0
	v_mad_u64_u32 v[42:43], null, s21, v9, v[0:1]
	v_lshlrev_b64 v[29:30], 3, v[46:47]
	v_mad_u64_u32 v[46:47], null, s21, v18, v[2:3]
	v_add_co_u32 v71, s0, v50, v40
	v_lshlrev_b64 v[38:39], 3, v[38:39]
	v_mov_b32_e32 v45, v42
	v_add_co_ci_u32_e64 v72, s0, v51, v41, s0
	v_add_co_u32 v73, s0, v50, v29
	v_mov_b32_e32 v49, v46
	v_add_co_ci_u32_e64 v74, s0, v51, v30, s0
	v_lshlrev_b64 v[29:30], 3, v[44:45]
	v_add_co_u32 v75, s0, v50, v38
	v_add_co_ci_u32_e64 v76, s0, v51, v39, s0
	v_lshlrev_b64 v[38:39], 3, v[48:49]
	v_add_co_u32 v77, s0, v50, v29
	v_add_co_ci_u32_e64 v78, s0, v51, v30, s0
	v_add_co_u32 v79, s0, v50, v38
	v_add_co_ci_u32_e64 v80, s0, v51, v39, s0
	s_clause 0x13
	global_load_dwordx2 v[30:31], v[19:20], off
	global_load_dwordx2 v[38:39], v[27:28], off
	;; [unrolled: 1-line block ×20, first 2 shown]
.LBB0_13:
	s_or_b32 exec_lo, exec_lo, s1
	s_waitcnt vmcnt(13)
	v_add_f32_e32 v0, v48, v46
	s_waitcnt vmcnt(11)
	v_add_f32_e32 v2, v44, v40
	v_add_f32_e32 v13, v30, v44
	v_sub_f32_e32 v65, v49, v47
	v_sub_f32_e32 v9, v48, v44
	v_fma_f32 v0, -0.5, v0, v30
	v_fmac_f32_e32 v30, -0.5, v2
	v_sub_f32_e32 v2, v44, v48
	v_sub_f32_e32 v56, v46, v40
	;; [unrolled: 1-line block ×4, first 2 shown]
	v_fmamk_f32 v66, v65, 0x3f737871, v30
	v_fmac_f32_e32 v30, 0xbf737871, v65
	v_sub_f32_e32 v60, v57, v50
	v_add_f32_e32 v9, v9, v56
	v_add_f32_e32 v67, v2, v59
	v_fmac_f32_e32 v66, 0xbf167918, v64
	v_fmac_f32_e32 v30, 0x3f167918, v64
	s_waitcnt vmcnt(10)
	v_sub_f32_e32 v59, v42, v52
	v_add_f32_e32 v56, v50, v52
	v_add_f32_e32 v2, v42, v57
	v_fmac_f32_e32 v66, 0x3e9e377a, v9
	v_fmac_f32_e32 v30, 0x3e9e377a, v9
	v_add_f32_e32 v69, v59, v60
	v_sub_f32_e32 v9, v50, v57
	v_sub_f32_e32 v59, v52, v42
	v_fma_f32 v56, -0.5, v56, v38
	v_add_f32_e32 v61, v38, v57
	v_fmac_f32_e32 v38, -0.5, v2
	v_sub_f32_e32 v68, v51, v53
	v_add_f32_e32 v60, v51, v53
	v_add_f32_e32 v62, v59, v9
	v_add_f32_e32 v9, v43, v58
	v_sub_f32_e32 v63, v58, v43
	v_fmamk_f32 v2, v68, 0x3f737871, v38
	v_fmac_f32_e32 v38, 0xbf737871, v68
	v_fma_f32 v59, -0.5, v60, v39
	v_add_f32_e32 v60, v39, v58
	v_fmac_f32_e32 v39, -0.5, v9
	v_sub_f32_e32 v70, v50, v52
	v_sub_f32_e32 v71, v57, v42
	v_sub_f32_e32 v57, v51, v58
	v_sub_f32_e32 v72, v53, v43
	v_fmac_f32_e32 v2, 0xbf167918, v63
	v_fmac_f32_e32 v38, 0x3f167918, v63
	v_fmamk_f32 v9, v70, 0xbf737871, v39
	v_fmac_f32_e32 v39, 0x3f737871, v70
	v_sub_f32_e32 v58, v58, v51
	v_sub_f32_e32 v73, v43, v53
	v_add_f32_e32 v72, v72, v57
	v_fmamk_f32 v57, v71, 0x3f737871, v59
	v_fmac_f32_e32 v2, 0x3e9e377a, v62
	v_fmac_f32_e32 v9, 0x3f167918, v71
	v_fmac_f32_e32 v39, 0xbf167918, v71
	v_fmac_f32_e32 v38, 0x3e9e377a, v62
	v_add_f32_e32 v58, v73, v58
	v_add_f32_e32 v62, v13, v48
	v_fmamk_f32 v13, v63, 0xbf737871, v56
	v_fmac_f32_e32 v57, 0x3f167918, v70
	v_add_f32_e32 v50, v50, v61
	v_fmac_f32_e32 v59, 0xbf737871, v71
	v_fmac_f32_e32 v9, 0x3e9e377a, v72
	v_fmac_f32_e32 v39, 0x3e9e377a, v72
	v_fmamk_f32 v72, v64, 0xbf737871, v0
	v_fmac_f32_e32 v13, 0xbf167918, v68
	v_fmac_f32_e32 v57, 0x3e9e377a, v58
	v_add_f32_e32 v50, v52, v50
	v_fmac_f32_e32 v56, 0x3f737871, v63
	v_fmac_f32_e32 v59, 0xbf167918, v70
	v_add_f32_e32 v61, v62, v46
	v_fmac_f32_e32 v72, 0xbf167918, v65
	v_fmac_f32_e32 v13, 0x3e9e377a, v69
	v_mul_f32_e32 v73, 0xbf167918, v57
	v_mul_f32_e32 v74, 0xbf737871, v9
	;; [unrolled: 1-line block ×3, first 2 shown]
	v_add_f32_e32 v42, v42, v50
	v_mul_u32_u24_e32 v50, 10, v1
	v_fmac_f32_e32 v0, 0x3f737871, v64
	v_fmac_f32_e32 v56, 0x3f167918, v68
	v_fmac_f32_e32 v59, 0x3e9e377a, v58
	v_add_f32_e32 v52, v61, v40
	v_fmac_f32_e32 v72, 0x3e9e377a, v67
	v_fmac_f32_e32 v73, 0x3f4f1bbd, v13
	;; [unrolled: 1-line block ×4, first 2 shown]
	v_lshl_add_u32 v70, v50, 2, 0
	v_fmac_f32_e32 v0, 0x3f167918, v65
	v_fmac_f32_e32 v56, 0x3e9e377a, v69
	v_mul_f32_e32 v50, 0xbf167918, v59
	v_add_f32_e32 v61, v52, v42
	v_add_f32_e32 v62, v72, v73
	;; [unrolled: 1-line block ×4, first 2 shown]
	v_fmac_f32_e32 v0, 0x3e9e377a, v67
	v_fmac_f32_e32 v50, 0xbf4f1bbd, v56
	s_waitcnt vmcnt(3)
	v_add_f32_e32 v58, v32, v24
	s_waitcnt vmcnt(1)
	v_add_f32_e32 v65, v22, v28
	ds_write2_b64 v70, v[61:62], v[63:64] offset1:1
	v_sub_f32_e32 v61, v72, v73
	v_sub_f32_e32 v62, v66, v74
	;; [unrolled: 1-line block ×3, first 2 shown]
	v_add_f32_e32 v63, v0, v50
	v_fma_f32 v42, -0.5, v58, v18
	v_add_f32_e32 v52, v18, v22
	v_fmac_f32_e32 v18, -0.5, v65
	v_sub_f32_e32 v58, v33, v25
	ds_write2_b64 v70, v[63:64], v[61:62] offset0:2 offset1:3
	v_sub_f32_e32 v62, v0, v50
	v_sub_f32_e32 v0, v32, v22
	v_sub_f32_e32 v50, v24, v28
	v_fmamk_f32 v66, v58, 0x3f737871, v18
	v_sub_f32_e32 v63, v23, v29
	v_fmac_f32_e32 v18, 0xbf737871, v58
	v_sub_f32_e32 v64, v22, v32
	v_sub_f32_e32 v65, v28, v24
	v_add_f32_e32 v0, v0, v50
	v_fmac_f32_e32 v66, 0xbf167918, v63
	v_fmac_f32_e32 v18, 0x3f167918, v63
	v_sub_f32_e32 v61, v30, v75
	v_add_f32_e32 v30, v64, v65
	v_add_f32_e32 v50, v34, v36
	v_fmac_f32_e32 v66, 0x3e9e377a, v0
	s_waitcnt vmcnt(0)
	v_add_f32_e32 v64, v54, v26
	v_fmac_f32_e32 v18, 0x3e9e377a, v0
	v_sub_f32_e32 v0, v36, v54
	v_sub_f32_e32 v68, v34, v26
	;; [unrolled: 1-line block ×4, first 2 shown]
	v_fma_f32 v69, -0.5, v50, v20
	v_add_f32_e32 v50, v54, v20
	v_fmac_f32_e32 v20, -0.5, v64
	v_sub_f32_e32 v64, v37, v35
	v_add_f32_e32 v72, v35, v37
	v_add_f32_e32 v0, v68, v0
	;; [unrolled: 1-line block ×4, first 2 shown]
	v_fmamk_f32 v71, v64, 0x3f737871, v20
	v_sub_f32_e32 v67, v55, v27
	v_fmac_f32_e32 v20, 0xbf737871, v64
	v_fma_f32 v72, -0.5, v72, v21
	v_add_f32_e32 v73, v55, v21
	v_fmac_f32_e32 v21, -0.5, v68
	v_sub_f32_e32 v68, v36, v34
	v_sub_f32_e32 v54, v54, v26
	v_fmac_f32_e32 v71, 0xbf167918, v67
	v_fmac_f32_e32 v20, 0x3f167918, v67
	v_sub_f32_e32 v74, v37, v55
	v_sub_f32_e32 v75, v35, v27
	v_fmamk_f32 v77, v68, 0xbf737871, v21
	v_sub_f32_e32 v55, v55, v37
	v_fmac_f32_e32 v21, 0x3f737871, v68
	v_sub_f32_e32 v76, v27, v35
	v_fmamk_f32 v78, v54, 0x3f737871, v72
	v_fmac_f32_e32 v72, 0xbf737871, v54
	v_add_f32_e32 v74, v75, v74
	v_fmac_f32_e32 v77, 0x3f167918, v54
	v_fmac_f32_e32 v71, 0x3e9e377a, v0
	;; [unrolled: 1-line block ×4, first 2 shown]
	v_add_f32_e32 v0, v76, v55
	v_add_f32_e32 v52, v52, v32
	v_fmamk_f32 v79, v67, 0xbf737871, v69
	v_fmac_f32_e32 v78, 0x3f167918, v68
	v_add_f32_e32 v36, v36, v50
	v_fmac_f32_e32 v69, 0x3f737871, v67
	v_fmac_f32_e32 v72, 0xbf167918, v68
	;; [unrolled: 1-line block ×4, first 2 shown]
	v_fmamk_f32 v74, v63, 0xbf737871, v42
	v_add_f32_e32 v50, v52, v24
	v_fmac_f32_e32 v79, 0xbf167918, v64
	v_fmac_f32_e32 v78, 0x3e9e377a, v0
	v_add_f32_e32 v34, v34, v36
	v_fmac_f32_e32 v42, 0x3f737871, v63
	v_fmac_f32_e32 v69, 0x3f167918, v64
	;; [unrolled: 1-line block ×4, first 2 shown]
	v_add_f32_e32 v36, v50, v28
	v_fmac_f32_e32 v79, 0x3e9e377a, v65
	v_mul_f32_e32 v50, 0xbf167918, v78
	v_add_f32_e32 v26, v26, v34
	v_mul_f32_e32 v34, 0xbf737871, v77
	v_fmac_f32_e32 v42, 0x3f167918, v58
	v_mul_f32_e32 v52, 0xbf737871, v21
	v_fmac_f32_e32 v69, 0x3e9e377a, v65
	;; [unrolled: 2-line block ×3, first 2 shown]
	v_fmac_f32_e32 v50, 0x3f4f1bbd, v79
	v_fmac_f32_e32 v34, 0x3e9e377a, v71
	;; [unrolled: 1-line block ×3, first 2 shown]
	v_add_f32_e32 v30, v31, v45
	v_fmac_f32_e32 v52, 0xbe9e377a, v20
	v_mul_i32_i24_e32 v0, 10, v10
	v_fmac_f32_e32 v58, 0xbf4f1bbd, v69
	v_add_f32_e32 v54, v36, v26
	v_add_f32_e32 v55, v74, v50
	;; [unrolled: 1-line block ×3, first 2 shown]
	v_sub_f32_e32 v65, v74, v50
	v_sub_f32_e32 v66, v66, v34
	;; [unrolled: 1-line block ×3, first 2 shown]
	v_add_f32_e32 v30, v30, v49
	v_add_f32_e32 v34, v49, v47
	v_sub_f32_e32 v50, v48, v46
	v_sub_f32_e32 v36, v45, v49
	;; [unrolled: 1-line block ×4, first 2 shown]
	v_add_f32_e32 v40, v45, v41
	v_add_f32_e32 v64, v18, v52
	v_lshl_add_u32 v0, v0, 2, 0
	v_add_f32_e32 v67, v42, v58
	v_add_f32_e32 v26, v51, v60
	ds_write_b64 v70, v[61:62] offset:32
	ds_write2_b64 v0, v[54:55], v[63:64] offset1:1
	ds_write2_b64 v0, v[67:68], v[65:66] offset0:2 offset1:3
	v_fma_f32 v54, -0.5, v34, v31
	v_fmac_f32_e32 v31, -0.5, v40
	v_add_f32_e32 v26, v53, v26
	v_add_f32_e32 v30, v30, v47
	v_sub_f32_e32 v48, v41, v47
	v_sub_f32_e32 v47, v47, v41
	v_fmamk_f32 v53, v50, 0xbf737871, v31
	v_fmac_f32_e32 v31, 0x3f737871, v50
	v_sub_f32_e32 v44, v18, v52
	v_mul_f32_e32 v18, 0xbe9e377a, v39
	v_add_f32_e32 v52, v43, v26
	v_add_f32_e32 v26, v46, v47
	v_fmac_f32_e32 v53, 0x3f167918, v49
	v_mul_f32_e32 v60, 0x3f737871, v2
	v_fmac_f32_e32 v31, 0xbf167918, v49
	v_sub_f32_e32 v45, v42, v58
	v_fmac_f32_e32 v18, 0x3f737871, v38
	v_fmamk_f32 v58, v49, 0x3f737871, v54
	v_fmac_f32_e32 v53, 0x3e9e377a, v26
	v_fmac_f32_e32 v60, 0x3e9e377a, v9
	;; [unrolled: 1-line block ×4, first 2 shown]
	v_add_f32_e32 v55, v36, v48
	v_fmac_f32_e32 v58, 0x3f167918, v50
	v_add_f32_e32 v47, v53, v60
	v_add_f32_e32 v48, v31, v18
	v_fmac_f32_e32 v54, 0xbf167918, v50
	v_sub_f32_e32 v50, v53, v60
	v_sub_f32_e32 v53, v31, v18
	v_add_f32_e32 v18, v37, v73
	v_add_f32_e32 v31, v19, v23
	v_sub_f32_e32 v24, v32, v24
	v_add_f32_e32 v32, v23, v29
	v_sub_f32_e32 v37, v23, v33
	v_add_f32_e32 v18, v35, v18
	v_add_f32_e32 v31, v31, v33
	;; [unrolled: 1-line block ×3, first 2 shown]
	v_sub_f32_e32 v23, v33, v23
	v_sub_f32_e32 v22, v22, v28
	;; [unrolled: 1-line block ×3, first 2 shown]
	v_add_f32_e32 v31, v31, v25
	v_fma_f32 v33, -0.5, v35, v19
	v_fmac_f32_e32 v19, -0.5, v32
	v_sub_f32_e32 v25, v25, v29
	v_mul_f32_e32 v35, 0xbe9e377a, v21
	v_add_f32_e32 v29, v31, v29
	v_add_f32_e32 v18, v27, v18
	v_fmamk_f32 v31, v24, 0xbf737871, v19
	v_fmac_f32_e32 v19, 0x3f737871, v24
	v_add_f32_e32 v21, v23, v25
	v_fmac_f32_e32 v35, 0x3f737871, v20
	v_fmamk_f32 v27, v22, 0x3f737871, v33
	v_fmac_f32_e32 v31, 0x3f167918, v22
	v_fmac_f32_e32 v19, 0xbf167918, v22
	v_mov_b32_e32 v20, 0xcccd
	v_mul_f32_e32 v57, 0x3f4f1bbd, v57
	v_add_f32_e32 v25, v37, v28
	v_fmac_f32_e32 v31, 0x3e9e377a, v21
	v_fmac_f32_e32 v19, 0x3e9e377a, v21
	v_mul_f32_e32 v21, 0x3f167918, v79
	v_fmac_f32_e32 v27, 0x3f167918, v24
	v_mul_u32_u24_sdwa v20, v10, v20 dst_sel:DWORD dst_unused:UNUSED_PAD src0_sel:WORD_0 src1_sel:DWORD
	v_mul_f32_e32 v59, 0xbf4f1bbd, v59
	v_add_f32_e32 v51, v30, v41
	v_fmac_f32_e32 v57, 0x3f167918, v13
	v_fmac_f32_e32 v58, 0x3e9e377a, v55
	v_mad_i32_i24 v34, 0xffffffdc, v1, v70
	v_fmac_f32_e32 v33, 0xbf737871, v22
	v_fmac_f32_e32 v21, 0x3f4f1bbd, v78
	v_fmac_f32_e32 v27, 0x3e9e377a, v25
	v_lshrrev_b32_e32 v20, 19, v20
	v_fmac_f32_e32 v54, 0x3e9e377a, v55
	v_fmac_f32_e32 v59, 0x3f167918, v56
	ds_write_b64 v0, v[44:45] offset:32
	v_add_f32_e32 v45, v51, v52
	v_add_f32_e32 v46, v58, v57
	v_add_nc_u32_e32 v74, 0x1800, v34
	v_add_nc_u32_e32 v96, 0x2c00, v34
	;; [unrolled: 1-line block ×3, first 2 shown]
	v_mul_f32_e32 v28, 0x3f737871, v71
	v_fmac_f32_e32 v33, 0xbf167918, v24
	v_add_f32_e32 v23, v27, v21
	v_sub_f32_e32 v24, v27, v21
	v_mul_lo_u16 v21, v20, 10
	v_lshl_add_u32 v36, v7, 2, 0
	v_add_nc_u32_e32 v80, 0x1e00, v34
	v_sub_f32_e32 v49, v58, v57
	v_sub_f32_e32 v52, v51, v52
	v_add_f32_e32 v51, v54, v59
	v_lshl_add_u32 v40, v8, 2, 0
	v_add_nc_u32_e32 v94, 0x2200, v34
	v_sub_f32_e32 v54, v54, v59
	v_lshl_add_u32 v41, v11, 2, 0
	v_add_nc_u32_e32 v95, 0x2800, v34
	v_lshl_add_u32 v42, v12, 2, 0
	s_load_dwordx2 s[4:5], s[4:5], 0x0
	s_waitcnt lgkmcnt(0)
	s_barrier
	buffer_gl0_inv
	v_mad_i32_i24 v2, 0xffffffdc, v10, v0
	ds_read_b32 v13, v34
	ds_read_b32 v44, v36
	;; [unrolled: 1-line block ×6, first 2 shown]
	ds_read2_b32 v[82:83], v74 offset0:64 offset1:224
	ds_read2_b32 v[84:85], v80 offset1:160
	ds_read2_b32 v[86:87], v94 offset0:64 offset1:224
	ds_read2_b32 v[88:89], v95 offset1:160
	ds_read2_b32 v[38:39], v96 offset0:64 offset1:224
	ds_read2st64_b32 v[57:58], v67 offset0:7 offset1:12
	ds_read2st64_b32 v[75:76], v67 offset0:17 offset1:22
	s_waitcnt lgkmcnt(0)
	s_barrier
	buffer_gl0_inv
	ds_write2_b64 v70, v[45:46], v[47:48] offset1:1
	ds_write2_b64 v70, v[51:52], v[49:50] offset0:2 offset1:3
	ds_write_b64 v70, v[53:54] offset:32
	v_fmac_f32_e32 v28, 0x3e9e377a, v77
	v_add_f32_e32 v22, v29, v18
	v_mul_f32_e32 v37, 0xbf4f1bbd, v72
	v_mov_b32_e32 v45, 9
	v_sub_nc_u16 v21, v10, v21
	v_sub_f32_e32 v32, v29, v18
	v_and_b32_e32 v29, 0xff, v1
	v_fmac_f32_e32 v33, 0x3e9e377a, v25
	v_sub_f32_e32 v25, v31, v28
	v_add_f32_e32 v27, v31, v28
	v_fmac_f32_e32 v37, 0x3f167918, v69
	v_add_f32_e32 v28, v19, v35
	v_sub_f32_e32 v18, v19, v35
	v_mul_u32_u24_sdwa v35, v21, v45 dst_sel:DWORD dst_unused:UNUSED_PAD src0_sel:WORD_0 src1_sel:DWORD
	v_mul_lo_u16 v29, 0xcd, v29
	v_sub_f32_e32 v19, v33, v37
	v_add_f32_e32 v31, v33, v37
	ds_write2_b64 v0, v[22:23], v[27:28] offset1:1
	ds_write2_b64 v0, v[31:32], v[24:25] offset0:2 offset1:3
	v_lshlrev_b32_e32 v56, 3, v35
	v_lshrrev_b16 v35, 11, v29
	ds_write_b64 v0, v[18:19] offset:32
	s_waitcnt lgkmcnt(0)
	s_barrier
	buffer_gl0_inv
	v_mul_lo_u16 v18, v35, 10
	s_clause 0x1
	global_load_dwordx4 v[22:25], v56, s[12:13]
	global_load_dwordx4 v[52:55], v56, s[12:13] offset:16
	v_mul_u32_u24_e32 v20, 0x190, v20
	v_cmp_gt_u32_e64 s0, 0x64, v1
	v_sub_nc_u16 v37, v1, v18
	v_mul_u32_u24_sdwa v18, v37, v45 dst_sel:DWORD dst_unused:UNUSED_PAD src0_sel:BYTE_0 src1_sel:DWORD
	v_lshlrev_b32_e32 v45, 3, v18
	s_clause 0x1
	global_load_dwordx4 v[59:62], v45, s[12:13] offset:32
	global_load_dwordx4 v[63:66], v56, s[12:13] offset:32
	ds_read2st64_b32 v[27:28], v67 offset0:7 offset1:12
	ds_read2st64_b32 v[32:33], v67 offset0:17 offset1:22
	s_clause 0x1
	global_load_dwordx4 v[67:70], v45, s[12:13] offset:48
	global_load_dwordx2 v[18:19], v45, s[12:13] offset:64
	ds_read2_b32 v[90:91], v74 offset0:64 offset1:224
	ds_read2_b32 v[92:93], v80 offset1:160
	global_load_dwordx4 v[71:74], v56, s[12:13] offset:48
	s_waitcnt vmcnt(6) lgkmcnt(3)
	v_mul_f32_e32 v46, v27, v23
	v_mul_f32_e32 v23, v57, v23
	s_waitcnt vmcnt(5) lgkmcnt(2)
	v_mul_f32_e32 v31, v32, v53
	v_mul_f32_e32 v51, v33, v55
	;; [unrolled: 1-line block ×4, first 2 shown]
	v_fmac_f32_e32 v46, v57, v22
	v_fma_f32 v47, v27, v22, -v23
	v_mul_f32_e32 v22, v75, v53
	v_mul_f32_e32 v23, v76, v55
	v_fmac_f32_e32 v31, v75, v52
	v_fmac_f32_e32 v51, v76, v54
	global_load_dwordx4 v[75:78], v45, s[12:13]
	v_fmac_f32_e32 v50, v58, v24
	v_fma_f32 v48, v28, v24, -v25
	v_fma_f32 v29, v32, v52, -v22
	;; [unrolled: 1-line block ×3, first 2 shown]
	s_waitcnt vmcnt(5) lgkmcnt(1)
	v_mul_f32_e32 v58, v90, v60
	v_mul_f32_e32 v22, v82, v60
	s_waitcnt lgkmcnt(0)
	v_mul_f32_e32 v24, v92, v62
	v_mul_f32_e32 v23, v84, v62
	s_waitcnt vmcnt(4)
	v_mul_f32_e32 v32, v91, v64
	v_fmac_f32_e32 v58, v82, v59
	v_fma_f32 v25, v90, v59, -v22
	v_fmac_f32_e32 v24, v84, v61
	v_fma_f32 v22, v92, v61, -v23
	s_clause 0x1
	global_load_dwordx4 v[79:82], v45, s[12:13] offset:16
	global_load_dwordx2 v[60:61], v56, s[12:13] offset:64
	ds_read2_b32 v[56:57], v94 offset0:64 offset1:224
	v_fmac_f32_e32 v32, v83, v63
	v_mul_f32_e32 v23, v83, v64
	ds_read2_b32 v[83:84], v95 offset1:160
	ds_read_b32 v45, v36
	v_mul_f32_e32 v53, v93, v66
	s_waitcnt vmcnt(5)
	v_mul_f32_e32 v33, v88, v70
	v_fma_f32 v54, v91, v63, -v23
	v_mul_f32_e32 v23, v85, v66
	ds_read_b32 v66, v40
	s_waitcnt vmcnt(3)
	v_mul_f32_e32 v55, v87, v72
	v_fmac_f32_e32 v53, v85, v65
	v_mul_f32_e32 v64, v89, v74
	v_fma_f32 v52, v93, v65, -v23
	v_mul_f32_e32 v23, v86, v68
	s_waitcnt lgkmcnt(3)
	v_mul_f32_e32 v59, v56, v68
	v_fma_f32 v27, v56, v67, -v23
	ds_read_b32 v68, v42
	s_waitcnt lgkmcnt(3)
	v_fma_f32 v23, v83, v69, -v33
	v_mul_f32_e32 v33, v57, v72
	v_fmac_f32_e32 v59, v86, v67
	ds_read_b32 v67, v41
	v_fma_f32 v55, v57, v71, -v55
	ds_read2_b32 v[62:63], v96 offset0:64 offset1:224
	ds_read_b32 v57, v2
	ds_read_b32 v65, v34
	v_mul_f32_e32 v28, v83, v70
	v_mul_f32_e32 v56, v84, v74
	v_fmac_f32_e32 v33, v87, v71
	v_fma_f32 v64, v84, v73, -v64
	s_waitcnt vmcnt(0) lgkmcnt(0)
	v_fmac_f32_e32 v28, v88, v69
	v_fmac_f32_e32 v56, v89, v73
	s_barrier
	buffer_gl0_inv
	v_sub_f32_e32 v85, v24, v28
	v_mul_f32_e32 v69, v45, v76
	v_mul_f32_e32 v70, v44, v76
	v_fmac_f32_e32 v69, v44, v75
	v_fma_f32 v70, v45, v75, -v70
	v_mul_f32_e32 v44, v66, v78
	v_mul_f32_e32 v45, v43, v78
	v_fmac_f32_e32 v44, v43, v77
	v_fma_f32 v74, v66, v77, -v45
	v_mul_f32_e32 v71, v67, v80
	v_mul_f32_e32 v72, v30, v80
	;; [unrolled: 1-line block ×6, first 2 shown]
	v_fmac_f32_e32 v71, v30, v79
	v_fma_f32 v30, v67, v79, -v72
	v_fmac_f32_e32 v73, v26, v81
	v_mul_f32_e32 v66, v63, v61
	v_fmac_f32_e32 v43, v38, v18
	v_fma_f32 v18, v62, v18, -v19
	v_fma_f32 v19, v63, v60, -v45
	v_mov_b32_e32 v61, 0x190
	v_mov_b32_e32 v45, 2
	v_fmac_f32_e32 v66, v39, v60
	v_sub_f32_e32 v38, v44, v73
	v_sub_f32_e32 v39, v28, v24
	;; [unrolled: 1-line block ×6, first 2 shown]
	v_mul_u32_u24_sdwa v35, v35, v61 dst_sel:DWORD dst_unused:UNUSED_PAD src0_sel:WORD_0 src1_sel:DWORD
	v_lshlrev_b32_sdwa v37, v45, v37 dst_sel:DWORD dst_unused:UNUSED_PAD src0_sel:DWORD src1_sel:BYTE_0
	v_add_f32_e32 v38, v38, v39
	v_add_f32_e32 v39, v60, v62
	;; [unrolled: 1-line block ×4, first 2 shown]
	v_add3_u32 v67, 0, v35, v37
	v_add_f32_e32 v37, v73, v24
	v_mul_f32_e32 v26, v26, v82
	v_add_f32_e32 v61, v25, v27
	v_add_f32_e32 v35, v13, v44
	;; [unrolled: 1-line block ×3, first 2 shown]
	v_fma_f32 v37, -0.5, v37, v13
	v_fmac_f32_e32 v13, -0.5, v83
	v_add_f32_e32 v83, v71, v43
	v_fma_f32 v26, v68, v81, -v26
	v_fma_f32 v68, -0.5, v61, v70
	v_sub_f32_e32 v61, v71, v43
	v_fma_f32 v72, -0.5, v62, v69
	v_add_f32_e32 v77, v69, v71
	v_fmac_f32_e32 v69, -0.5, v83
	v_add_f32_e32 v83, v30, v18
	v_sub_f32_e32 v62, v30, v18
	v_fmamk_f32 v75, v61, 0x3f737871, v68
	v_sub_f32_e32 v63, v58, v59
	v_add_f32_e32 v77, v77, v58
	v_sub_f32_e32 v58, v58, v71
	v_add_f32_e32 v71, v70, v30
	v_fmac_f32_e32 v70, -0.5, v83
	v_sub_f32_e32 v30, v25, v30
	v_sub_f32_e32 v83, v27, v18
	;; [unrolled: 1-line block ×3, first 2 shown]
	v_fmamk_f32 v78, v62, 0xbf737871, v72
	v_sub_f32_e32 v79, v25, v27
	v_fmac_f32_e32 v75, 0x3f167918, v63
	v_add_f32_e32 v77, v77, v59
	v_add_f32_e32 v30, v30, v83
	v_fmamk_f32 v83, v63, 0xbf737871, v70
	v_fmac_f32_e32 v70, 0x3f737871, v63
	v_add_f32_e32 v35, v35, v73
	v_fmamk_f32 v80, v76, 0xbf737871, v37
	v_sub_f32_e32 v81, v26, v22
	v_fmac_f32_e32 v78, 0xbf167918, v79
	v_fmac_f32_e32 v75, 0x3e9e377a, v60
	v_add_f32_e32 v77, v77, v43
	v_sub_f32_e32 v43, v59, v43
	v_fmamk_f32 v86, v79, 0x3f737871, v69
	v_fmac_f32_e32 v69, 0xbf737871, v79
	v_fmac_f32_e32 v83, 0x3f167918, v61
	;; [unrolled: 1-line block ×4, first 2 shown]
	v_add_f32_e32 v35, v35, v24
	v_fmac_f32_e32 v80, 0xbf167918, v81
	v_fmac_f32_e32 v78, 0x3e9e377a, v39
	v_mul_f32_e32 v82, 0xbf167918, v75
	v_sub_f32_e32 v84, v73, v44
	v_fmamk_f32 v59, v81, 0x3f737871, v13
	v_fmac_f32_e32 v13, 0xbf737871, v81
	v_add_f32_e32 v43, v58, v43
	v_fmac_f32_e32 v86, 0xbf167918, v62
	v_fmac_f32_e32 v69, 0x3f167918, v62
	v_fmac_f32_e32 v72, 0x3f737871, v62
	v_fmac_f32_e32 v68, 0xbf167918, v63
	v_fmac_f32_e32 v83, 0x3e9e377a, v30
	v_fmac_f32_e32 v70, 0x3e9e377a, v30
	v_add_f32_e32 v35, v35, v28
	v_fmac_f32_e32 v80, 0x3e9e377a, v38
	v_fmac_f32_e32 v82, 0x3f4f1bbd, v78
	v_add_f32_e32 v84, v84, v85
	v_fmac_f32_e32 v59, 0xbf167918, v76
	v_fmac_f32_e32 v13, 0x3f167918, v76
	;; [unrolled: 1-line block ×7, first 2 shown]
	v_mul_f32_e32 v30, 0xbf737871, v83
	v_mul_f32_e32 v43, 0xbf737871, v70
	v_add_f32_e32 v85, v35, v77
	v_add_f32_e32 v58, v80, v82
	v_fmac_f32_e32 v59, 0x3e9e377a, v84
	v_fmac_f32_e32 v37, 0x3f167918, v81
	;; [unrolled: 1-line block ×3, first 2 shown]
	v_mul_f32_e32 v39, 0xbf167918, v68
	v_fmac_f32_e32 v13, 0x3e9e377a, v84
	v_fmac_f32_e32 v30, 0x3e9e377a, v86
	;; [unrolled: 1-line block ×5, first 2 shown]
	ds_write2_b32 v67, v85, v58 offset1:10
	v_add_f32_e32 v38, v59, v30
	v_add_f32_e32 v58, v13, v43
	v_sub_f32_e32 v35, v35, v77
	v_add_f32_e32 v60, v37, v39
	v_sub_f32_e32 v61, v80, v82
	v_sub_f32_e32 v30, v59, v30
	ds_write2_b32 v67, v38, v58 offset0:20 offset1:30
	v_sub_f32_e32 v38, v50, v51
	v_sub_f32_e32 v58, v56, v53
	ds_write2_b32 v67, v60, v35 offset0:40 offset1:50
	ds_write2_b32 v67, v61, v30 offset0:60 offset1:70
	v_sub_f32_e32 v30, v37, v39
	v_sub_f32_e32 v37, v31, v32
	v_lshlrev_b32_sdwa v21, v45, v21 dst_sel:DWORD dst_unused:UNUSED_PAD src0_sel:DWORD src1_sel:WORD_0
	v_add_f32_e32 v35, v38, v58
	v_sub_f32_e32 v38, v66, v33
	v_sub_f32_e32 v13, v13, v43
	v_sub_f32_e32 v39, v29, v54
	v_add3_u32 v63, 0, v20, v21
	v_sub_f32_e32 v43, v19, v55
	v_add_f32_e32 v37, v37, v38
	v_add_f32_e32 v38, v9, v50
	v_add_f32_e32 v20, v54, v55
	v_add_f32_e32 v58, v32, v33
	v_add_f32_e32 v39, v39, v43
	v_add_f32_e32 v43, v51, v53
	v_add_f32_e32 v21, v38, v51
	v_add_f32_e32 v38, v46, v31
	v_add_f32_e32 v82, v50, v56
	v_add_f32_e32 v84, v31, v66
	v_fma_f32 v43, -0.5, v43, v9
	v_fma_f32 v76, -0.5, v20, v47
	v_add_f32_e32 v38, v38, v32
	v_sub_f32_e32 v20, v31, v66
	v_fma_f32 v77, -0.5, v58, v46
	v_sub_f32_e32 v60, v32, v33
	v_fmac_f32_e32 v9, -0.5, v82
	v_add_f32_e32 v38, v38, v33
	v_fmac_f32_e32 v46, -0.5, v84
	v_sub_f32_e32 v82, v51, v50
	v_sub_f32_e32 v84, v53, v56
	;; [unrolled: 1-line block ×3, first 2 shown]
	v_add_f32_e32 v38, v38, v66
	v_sub_f32_e32 v32, v33, v66
	v_add_f32_e32 v66, v29, v19
	v_sub_f32_e32 v81, v54, v55
	v_add_f32_e32 v33, v82, v84
	v_add_f32_e32 v82, v47, v29
	v_sub_f32_e32 v58, v29, v19
	v_fmac_f32_e32 v47, -0.5, v66
	v_fmamk_f32 v79, v20, 0x3f737871, v76
	v_fmamk_f32 v85, v81, 0x3f737871, v46
	v_fmac_f32_e32 v46, 0xbf737871, v81
	v_add_f32_e32 v31, v31, v32
	v_sub_f32_e32 v29, v54, v29
	v_sub_f32_e32 v32, v55, v19
	v_fmamk_f32 v84, v60, 0xbf737871, v47
	v_fmac_f32_e32 v47, 0x3f737871, v60
	v_fmac_f32_e32 v76, 0xbf737871, v20
	v_sub_f32_e32 v59, v48, v64
	v_fmamk_f32 v80, v58, 0xbf737871, v77
	v_fmac_f32_e32 v79, 0x3f167918, v60
	v_sub_f32_e32 v62, v49, v52
	v_fmac_f32_e32 v85, 0xbf167918, v58
	v_fmac_f32_e32 v46, 0x3f167918, v58
	v_add_f32_e32 v29, v29, v32
	v_fmac_f32_e32 v84, 0x3f167918, v20
	v_fmac_f32_e32 v47, 0xbf167918, v20
	;; [unrolled: 1-line block ×4, first 2 shown]
	v_fmamk_f32 v61, v59, 0xbf737871, v43
	v_fmac_f32_e32 v80, 0xbf167918, v81
	v_fmac_f32_e32 v79, 0x3e9e377a, v39
	;; [unrolled: 1-line block ×4, first 2 shown]
	v_fmamk_f32 v31, v62, 0x3f737871, v9
	v_fmac_f32_e32 v9, 0xbf737871, v62
	v_fmac_f32_e32 v84, 0x3e9e377a, v29
	v_fmac_f32_e32 v47, 0x3e9e377a, v29
	v_fmac_f32_e32 v43, 0x3f737871, v59
	v_fmac_f32_e32 v77, 0x3f167918, v81
	v_fmac_f32_e32 v76, 0x3e9e377a, v39
	v_add_f32_e32 v21, v21, v53
	v_fmac_f32_e32 v61, 0xbf167918, v62
	v_fmac_f32_e32 v80, 0x3e9e377a, v37
	v_mul_f32_e32 v66, 0xbf167918, v79
	v_fmac_f32_e32 v31, 0xbf167918, v59
	v_fmac_f32_e32 v9, 0x3f167918, v59
	v_mul_f32_e32 v29, 0xbf737871, v84
	v_mul_f32_e32 v32, 0xbf737871, v47
	v_fmac_f32_e32 v43, 0x3f167918, v62
	v_fmac_f32_e32 v77, 0x3e9e377a, v37
	v_mul_f32_e32 v37, 0xbf167918, v76
	v_add_f32_e32 v21, v21, v56
	v_fmac_f32_e32 v61, 0x3e9e377a, v35
	v_fmac_f32_e32 v66, 0x3f4f1bbd, v80
	;; [unrolled: 1-line block ×8, first 2 shown]
	v_add_f32_e32 v20, v21, v38
	v_add_f32_e32 v33, v61, v66
	;; [unrolled: 1-line block ×4, first 2 shown]
	v_sub_f32_e32 v21, v21, v38
	v_add_f32_e32 v38, v43, v37
	v_sub_f32_e32 v58, v61, v66
	v_sub_f32_e32 v29, v31, v29
	ds_write2_b32 v67, v13, v30 offset0:80 offset1:90
	ds_write2_b32 v63, v20, v33 offset1:10
	ds_write2_b32 v63, v35, v39 offset0:20 offset1:30
	ds_write2_b32 v63, v38, v21 offset0:40 offset1:50
	;; [unrolled: 1-line block ×3, first 2 shown]
	v_sub_f32_e32 v9, v9, v32
	v_sub_f32_e32 v20, v43, v37
	v_add_f32_e32 v13, v26, v22
	v_add_f32_e32 v21, v71, v25
	v_sub_f32_e32 v25, v44, v28
	v_add_f32_e32 v28, v65, v74
	ds_write2_b32 v63, v9, v20 offset0:80 offset1:90
	v_add_f32_e32 v20, v74, v23
	v_fma_f32 v71, -0.5, v13, v65
	v_sub_f32_e32 v13, v74, v26
	v_sub_f32_e32 v29, v23, v22
	;; [unrolled: 1-line block ×3, first 2 shown]
	v_add_f32_e32 v24, v28, v26
	v_fmac_f32_e32 v65, -0.5, v20
	v_fmamk_f32 v73, v25, 0x3f737871, v71
	v_add_f32_e32 v81, v13, v29
	v_fmac_f32_e32 v71, 0xbf737871, v25
	v_add_f32_e32 v13, v24, v22
	v_sub_f32_e32 v24, v26, v74
	v_sub_f32_e32 v26, v22, v23
	v_fmamk_f32 v74, v32, 0xbf737871, v65
	v_fmac_f32_e32 v65, 0x3f737871, v32
	v_add_f32_e32 v21, v21, v27
	v_mul_f32_e32 v75, 0x3f4f1bbd, v75
	v_fmac_f32_e32 v73, 0x3f167918, v32
	v_add_f32_e32 v24, v24, v26
	v_fmac_f32_e32 v74, 0x3f167918, v25
	v_fmac_f32_e32 v65, 0xbf167918, v25
	v_mul_f32_e32 v83, 0x3e9e377a, v83
	v_mul_f32_e32 v70, 0xbe9e377a, v70
	v_fmac_f32_e32 v71, 0xbf167918, v32
	v_mul_f32_e32 v68, 0xbf4f1bbd, v68
	v_add_f32_e32 v18, v21, v18
	v_fmac_f32_e32 v75, 0x3f167918, v78
	v_add_f32_e32 v78, v13, v23
	v_fmac_f32_e32 v73, 0x3e9e377a, v81
	v_fmac_f32_e32 v74, 0x3e9e377a, v24
	;; [unrolled: 1-line block ×7, first 2 shown]
	v_add_nc_u32_e32 v13, 0x1600, v34
	v_add_nc_u32_e32 v38, 0x2500, v34
	;; [unrolled: 1-line block ×6, first 2 shown]
	v_add_f32_e32 v69, v78, v18
	v_add_f32_e32 v81, v73, v75
	v_lshl_add_u32 v39, v14, 2, 0
	v_add_f32_e32 v72, v74, v83
	v_sub_f32_e32 v18, v78, v18
	v_add_f32_e32 v78, v65, v70
	v_lshl_add_u32 v37, v15, 2, 0
	v_sub_f32_e32 v73, v73, v75
	v_add_f32_e32 v75, v71, v68
	s_waitcnt lgkmcnt(0)
	s_barrier
	buffer_gl0_inv
	ds_read_b32 v61, v2
	ds_read_b32 v59, v39
	;; [unrolled: 1-line block ×5, first 2 shown]
	ds_read_b32 v62, v34 offset:12160
	ds_read2st64_b32 v[20:21], v34 offset1:15
	ds_read2_b32 v[30:31], v13 offset0:32 offset1:192
	ds_read2_b32 v[22:23], v38 offset0:32 offset1:192
	;; [unrolled: 1-line block ×6, first 2 shown]
	s_waitcnt lgkmcnt(0)
	s_barrier
	buffer_gl0_inv
	ds_write2_b32 v67, v69, v81 offset1:10
	ds_write2_b32 v67, v72, v78 offset0:20 offset1:30
	ds_write2_b32 v67, v75, v18 offset0:40 offset1:50
	v_add_f32_e32 v18, v49, v52
	v_add_f32_e32 v54, v82, v54
	v_sub_f32_e32 v50, v50, v56
	v_add_f32_e32 v56, v57, v48
	v_sub_f32_e32 v74, v74, v83
	v_fma_f32 v69, -0.5, v18, v57
	v_add_f32_e32 v54, v54, v55
	v_sub_f32_e32 v18, v51, v53
	v_sub_f32_e32 v51, v48, v49
	;; [unrolled: 1-line block ×3, first 2 shown]
	v_add_f32_e32 v56, v56, v49
	v_fmamk_f32 v72, v50, 0x3f737871, v69
	v_add_f32_e32 v19, v54, v19
	v_add_f32_e32 v54, v48, v64
	v_mul_f32_e32 v55, 0x3f4f1bbd, v79
	v_add_f32_e32 v51, v51, v53
	v_add_f32_e32 v53, v56, v52
	v_fmac_f32_e32 v72, 0x3f167918, v18
	v_fmac_f32_e32 v57, -0.5, v54
	v_fmac_f32_e32 v55, 0x3f167918, v80
	v_sub_f32_e32 v48, v49, v48
	v_add_f32_e32 v53, v53, v64
	v_fmac_f32_e32 v72, 0x3e9e377a, v51
	v_sub_f32_e32 v49, v52, v64
	v_fmamk_f32 v52, v18, 0xbf737871, v57
	v_fmac_f32_e32 v57, 0x3f737871, v18
	v_sub_f32_e32 v56, v65, v70
	v_sub_f32_e32 v65, v71, v68
	v_add_f32_e32 v54, v53, v19
	v_add_f32_e32 v68, v72, v55
	v_fmac_f32_e32 v69, 0xbf737871, v50
	v_add_f32_e32 v48, v48, v49
	v_fmac_f32_e32 v52, 0x3f167918, v50
	v_fmac_f32_e32 v57, 0xbf167918, v50
	ds_write2_b32 v67, v73, v74 offset0:60 offset1:70
	ds_write2_b32 v67, v56, v65 offset0:80 offset1:90
	ds_write2_b32 v63, v54, v68 offset1:10
	v_mul_f32_e32 v49, 0x3e9e377a, v84
	v_mul_f32_e32 v54, 0xbe9e377a, v47
	v_fmac_f32_e32 v69, 0xbf167918, v18
	v_add_nc_u32_e32 v18, 0xffffff9c, v1
	v_fmac_f32_e32 v52, 0x3e9e377a, v48
	v_fmac_f32_e32 v57, 0x3e9e377a, v48
	v_mul_f32_e32 v48, 0xbf4f1bbd, v76
	v_fmac_f32_e32 v49, 0x3f737871, v85
	v_fmac_f32_e32 v54, 0x3f737871, v46
	v_cndmask_b32_e64 v71, v18, v1, s0
	v_fmac_f32_e32 v69, 0x3e9e377a, v51
	v_fmac_f32_e32 v48, 0x3f167918, v77
	v_mov_b32_e32 v73, 0x147b
	v_lshrrev_b16 v50, 2, v8
	v_add_f32_e32 v46, v52, v49
	v_add_f32_e32 v47, v57, v54
	v_sub_f32_e32 v51, v53, v19
	v_mul_i32_i24_e32 v18, 3, v71
	v_mov_b32_e32 v19, 0
	v_add_f32_e32 v53, v69, v48
	v_mul_u32_u24_sdwa v50, v50, v73 dst_sel:DWORD dst_unused:UNUSED_PAD src0_sel:WORD_0 src1_sel:DWORD
	ds_write2_b32 v63, v46, v47 offset0:20 offset1:30
	ds_write2_b32 v63, v53, v51 offset0:40 offset1:50
	v_lshlrev_b64 v[46:47], 3, v[18:19]
	v_sub_f32_e32 v55, v72, v55
	v_sub_f32_e32 v49, v52, v49
	v_lshrrev_b32_e32 v72, 17, v50
	v_sub_f32_e32 v18, v57, v54
	v_sub_f32_e32 v48, v69, v48
	v_add_co_u32 v64, s0, s12, v46
	ds_write2_b32 v63, v55, v49 offset0:60 offset1:70
	v_mul_lo_u16 v49, 0x64, v72
	v_add_co_ci_u32_e64 v65, s0, s13, v47, s0
	v_lshrrev_b16 v50, 2, v14
	ds_write2_b32 v63, v18, v48 offset0:80 offset1:90
	s_waitcnt lgkmcnt(0)
	s_barrier
	v_sub_nc_u16 v18, v8, v49
	v_mov_b32_e32 v74, 3
	buffer_gl0_inv
	global_load_dwordx4 v[46:49], v[64:65], off offset:720
	v_mul_u32_u24_sdwa v50, v50, v73 dst_sel:DWORD dst_unused:UNUSED_PAD src0_sel:WORD_0 src1_sel:DWORD
	v_cmp_lt_u32_e64 s0, 0x63, v1
	v_mul_u32_u24_sdwa v51, v18, v74 dst_sel:DWORD dst_unused:UNUSED_PAD src0_sel:WORD_0 src1_sel:DWORD
	v_lshlrev_b32_sdwa v18, v45, v18 dst_sel:DWORD dst_unused:UNUSED_PAD src0_sel:DWORD src1_sel:WORD_0
	v_lshrrev_b32_e32 v75, 17, v50
	v_lshlrev_b32_e32 v76, 3, v51
	v_mul_lo_u16 v54, 0x64, v75
	global_load_dwordx4 v[50:53], v76, s[12:13] offset:720
	v_sub_nc_u16 v77, v14, v54
	v_mul_u32_u24_sdwa v54, v77, v74 dst_sel:DWORD dst_unused:UNUSED_PAD src0_sel:WORD_0 src1_sel:DWORD
	v_lshlrev_b32_e32 v78, 3, v54
	global_load_dwordx4 v[54:57], v78, s[12:13] offset:720
	ds_read_b32 v79, v37
	ds_read2_b32 v[67:68], v13 offset0:32 offset1:192
	global_load_dwordx2 v[63:64], v[64:65], off offset:736
	ds_read_b32 v65, v39
	ds_read_b32 v80, v2
	;; [unrolled: 1-line block ×3, first 2 shown]
	ds_read2_b32 v[69:70], v43 offset0:32 offset1:192
	s_waitcnt vmcnt(3) lgkmcnt(4)
	v_mul_f32_e32 v83, v68, v49
	v_mul_f32_e32 v49, v31, v49
	;; [unrolled: 1-line block ×4, first 2 shown]
	v_fmac_f32_e32 v83, v31, v48
	v_lshrrev_b16 v31, 2, v7
	v_fmac_f32_e32 v82, v66, v46
	v_fma_f32 v66, v79, v46, -v47
	v_fma_f32 v68, v68, v48, -v49
	global_load_dwordx2 v[46:47], v76, s[12:13] offset:736
	v_mul_u32_u24_sdwa v31, v31, v73 dst_sel:DWORD dst_unused:UNUSED_PAD src0_sel:WORD_0 src1_sel:DWORD
	ds_read2_b32 v[48:49], v9 offset0:32 offset1:192
	s_waitcnt vmcnt(3)
	v_mul_f32_e32 v76, v67, v51
	v_mul_f32_e32 v51, v30, v51
	s_waitcnt lgkmcnt(1)
	v_mul_f32_e32 v84, v70, v53
	v_lshrrev_b32_e32 v79, 17, v31
	v_fmac_f32_e32 v76, v30, v50
	v_mul_f32_e32 v30, v33, v53
	v_fmac_f32_e32 v84, v33, v52
	v_mul_lo_u16 v31, 0x64, v79
	v_fma_f32 v67, v67, v50, -v51
	global_load_dwordx2 v[50:51], v78, s[12:13] offset:736
	v_fma_f32 v33, v70, v52, -v30
	v_sub_nc_u16 v70, v7, v31
	s_waitcnt vmcnt(3)
	v_mul_f32_e32 v78, v69, v57
	v_mul_u32_u24_sdwa v30, v70, v74 dst_sel:DWORD dst_unused:UNUSED_PAD src0_sel:WORD_0 src1_sel:DWORD
	v_mul_f32_e32 v31, v32, v57
	s_waitcnt lgkmcnt(0)
	v_mul_f32_e32 v57, v49, v55
	v_fmac_f32_e32 v78, v32, v56
	v_mul_f32_e32 v32, v29, v55
	v_lshlrev_b32_e32 v52, 3, v30
	v_fma_f32 v69, v69, v56, -v31
	v_fmac_f32_e32 v57, v29, v54
	v_fma_f32 v85, v49, v54, -v32
	s_clause 0x1
	global_load_dwordx4 v[29:32], v52, s[12:13] offset:720
	global_load_dwordx2 v[52:53], v52, s[12:13] offset:736
	s_waitcnt vmcnt(1)
	v_mul_f32_e32 v54, v48, v30
	v_fmac_f32_e32 v54, v28, v29
	v_mul_f32_e32 v28, v28, v30
	v_fma_f32 v86, v48, v29, -v28
	ds_read2_b32 v[48:49], v35 offset0:32 offset1:192
	s_waitcnt lgkmcnt(0)
	v_mul_f32_e32 v55, v49, v32
	v_fmac_f32_e32 v55, v27, v31
	v_mul_f32_e32 v27, v27, v32
	v_fma_f32 v87, v49, v31, -v27
	v_lshrrev_b16 v27, 2, v10
	v_mul_u32_u24_sdwa v27, v27, v73 dst_sel:DWORD dst_unused:UNUSED_PAD src0_sel:WORD_0 src1_sel:DWORD
	v_lshrrev_b32_e32 v49, 17, v27
	v_mul_lo_u16 v27, 0x64, v49
	v_sub_nc_u16 v56, v10, v27
	v_mul_u32_u24_sdwa v27, v56, v74 dst_sel:DWORD dst_unused:UNUSED_PAD src0_sel:WORD_0 src1_sel:DWORD
	v_lshlrev_b32_e32 v27, 3, v27
	s_clause 0x1
	global_load_dwordx2 v[31:32], v27, s[12:13] offset:736
	global_load_dwordx4 v[27:30], v27, s[12:13] offset:720
	s_waitcnt vmcnt(0)
	v_mul_f32_e32 v73, v48, v30
	v_fmac_f32_e32 v73, v26, v29
	v_mul_f32_e32 v26, v26, v30
	v_fma_f32 v48, v48, v29, -v26
	ds_read2st64_b32 v[29:30], v34 offset1:15
	v_sub_f32_e32 v48, v80, v48
	s_waitcnt lgkmcnt(0)
	v_mul_f32_e32 v74, v30, v28
	v_fmac_f32_e32 v74, v21, v27
	v_mul_f32_e32 v21, v21, v28
	v_fma_f32 v28, v30, v27, -v21
	ds_read2_b32 v[26:27], v38 offset0:32 offset1:192
	v_mul_f32_e32 v21, v22, v64
	s_waitcnt lgkmcnt(0)
	v_mul_f32_e32 v30, v26, v64
	v_fma_f32 v26, v26, v63, -v21
	v_mul_f32_e32 v21, v23, v32
	v_fmac_f32_e32 v30, v22, v63
	v_mul_f32_e32 v63, v27, v32
	v_sub_f32_e32 v26, v66, v26
	v_sub_f32_e32 v30, v82, v30
	v_fmac_f32_e32 v63, v23, v31
	v_fma_f32 v23, v27, v31, -v21
	ds_read2_b32 v[21:22], v44 offset0:32 offset1:192
	v_sub_f32_e32 v63, v74, v63
	v_sub_f32_e32 v64, v28, v23
	v_mul_u32_u24_e32 v23, 0x640, v49
	v_lshlrev_b32_sdwa v49, v45, v56 dst_sel:DWORD dst_unused:UNUSED_PAD src0_sel:DWORD src1_sel:WORD_0
	v_fma_f32 v28, v28, 2.0, -v64
	s_waitcnt lgkmcnt(0)
	v_mul_f32_e32 v27, v21, v53
	v_fmac_f32_e32 v27, v24, v52
	v_mul_f32_e32 v24, v24, v53
	v_cndmask_b32_e64 v53, 0, 0x640, s0
	v_sub_f32_e32 v27, v54, v27
	v_fma_f32 v21, v21, v52, -v24
	v_mul_f32_e32 v24, v22, v51
	v_lshlrev_b32_e32 v52, 2, v71
	v_fmac_f32_e32 v24, v25, v50
	v_mul_f32_e32 v25, v25, v51
	v_fma_f32 v51, v82, 2.0, -v30
	v_fma_f32 v22, v22, v50, -v25
	ds_read_b32 v25, v34 offset:12160
	ds_read_b32 v31, v36
	v_sub_f32_e32 v50, v20, v83
	s_waitcnt lgkmcnt(0)
	s_barrier
	buffer_gl0_inv
	v_fma_f32 v20, v20, 2.0, -v50
	v_sub_f32_e32 v51, v20, v51
	v_fma_f32 v20, v20, 2.0, -v51
	v_mul_f32_e32 v32, v25, v47
	v_mul_f32_e32 v47, v62, v47
	v_fmac_f32_e32 v32, v62, v46
	v_fma_f32 v25, v25, v46, -v47
	v_add3_u32 v47, 0, v53, v52
	v_sub_f32_e32 v52, v61, v73
	v_add_f32_e32 v46, v50, v26
	v_add3_u32 v73, 0, v23, v49
	v_sub_f32_e32 v49, v60, v55
	v_add_nc_u32_e32 v71, 0x200, v47
	v_fma_f32 v53, v61, 2.0, -v52
	v_fma_f32 v61, v74, 2.0, -v63
	;; [unrolled: 1-line block ×3, first 2 shown]
	v_sub_f32_e32 v74, v86, v21
	ds_write2_b32 v71, v51, v46 offset0:72 offset1:172
	v_mul_u32_u24_e32 v21, 0x640, v79
	v_sub_f32_e32 v56, v53, v61
	v_add_f32_e32 v61, v52, v64
	ds_write2_b32 v47, v20, v50 offset1:100
	v_lshlrev_b32_sdwa v50, v45, v70 dst_sel:DWORD dst_unused:UNUSED_PAD src0_sel:DWORD src1_sel:WORD_0
	v_add_f32_e32 v51, v49, v74
	v_fma_f32 v20, v53, 2.0, -v56
	v_fma_f32 v23, v52, 2.0, -v61
	v_sub_f32_e32 v52, v59, v78
	v_sub_f32_e32 v70, v57, v24
	v_add3_u32 v78, 0, v21, v50
	v_fma_f32 v21, v49, 2.0, -v51
	ds_write2_b32 v73, v20, v23 offset1:100
	v_fma_f32 v20, v60, 2.0, -v49
	v_fma_f32 v23, v54, 2.0, -v27
	;; [unrolled: 1-line block ×4, first 2 shown]
	v_add_nc_u32_e32 v46, 0x200, v73
	v_mul_u32_u24_e32 v50, 0x640, v75
	v_sub_f32_e32 v23, v20, v23
	v_sub_f32_e32 v75, v85, v22
	v_lshlrev_b32_sdwa v22, v45, v77 dst_sel:DWORD dst_unused:UNUSED_PAD src0_sel:DWORD src1_sel:WORD_0
	v_add_nc_u32_e32 v79, 0x200, v78
	v_sub_f32_e32 v49, v24, v49
	v_fma_f32 v20, v20, 2.0, -v23
	ds_write2_b32 v46, v56, v61 offset0:72 offset1:172
	ds_write2_b32 v78, v20, v21 offset1:100
	ds_write2_b32 v79, v23, v51 offset0:72 offset1:172
	v_add_f32_e32 v20, v52, v75
	v_add3_u32 v77, 0, v50, v22
	v_sub_f32_e32 v22, v58, v84
	v_sub_f32_e32 v32, v76, v32
	v_fma_f32 v21, v24, 2.0, -v49
	v_mul_u32_u24_e32 v24, 0x640, v72
	v_sub_f32_e32 v51, v29, v68
	v_fma_f32 v23, v52, 2.0, -v20
	v_fma_f32 v45, v58, 2.0, -v22
	;; [unrolled: 1-line block ×3, first 2 shown]
	v_sub_f32_e32 v25, v67, v25
	v_add3_u32 v18, 0, v24, v18
	v_fma_f32 v24, v29, 2.0, -v51
	v_fma_f32 v26, v66, 2.0, -v26
	ds_write2_b32 v77, v21, v23 offset1:100
	v_sub_f32_e32 v21, v45, v50
	v_add_f32_e32 v23, v22, v25
	v_add_nc_u32_e32 v29, 0x200, v77
	v_sub_f32_e32 v26, v24, v26
	v_sub_f32_e32 v30, v51, v30
	v_fma_f32 v64, v80, 2.0, -v48
	v_fma_f32 v45, v45, 2.0, -v21
	;; [unrolled: 1-line block ×3, first 2 shown]
	v_add_nc_u32_e32 v66, 0x200, v18
	ds_write2_b32 v29, v49, v20 offset0:72 offset1:172
	ds_write2_b32 v18, v45, v22 offset1:100
	ds_write2_b32 v66, v21, v23 offset0:72 offset1:172
	v_fma_f32 v45, v24, 2.0, -v26
	v_fma_f32 v68, v51, 2.0, -v30
	v_sub_f32_e32 v76, v31, v87
	v_sub_f32_e32 v28, v64, v28
	;; [unrolled: 1-line block ×3, first 2 shown]
	s_waitcnt lgkmcnt(0)
	s_barrier
	buffer_gl0_inv
	ds_read_b32 v23, v2
	ds_read_b32 v20, v39
	;; [unrolled: 1-line block ×5, first 2 shown]
	ds_read_b32 v24, v34 offset:12160
	ds_read2st64_b32 v[49:50], v34 offset1:15
	ds_read2_b32 v[51:52], v13 offset0:32 offset1:192
	ds_read2_b32 v[53:54], v38 offset0:32 offset1:192
	;; [unrolled: 1-line block ×6, first 2 shown]
	s_waitcnt lgkmcnt(0)
	s_barrier
	buffer_gl0_inv
	ds_write2_b32 v47, v45, v68 offset1:100
	v_fma_f32 v45, v86, 2.0, -v74
	v_fma_f32 v31, v31, 2.0, -v76
	;; [unrolled: 1-line block ×4, first 2 shown]
	ds_write2_b32 v71, v26, v30 offset0:72 offset1:172
	v_sub_f32_e32 v26, v65, v69
	v_sub_f32_e32 v30, v31, v45
	;; [unrolled: 1-line block ×3, first 2 shown]
	ds_write2_b32 v73, v47, v48 offset1:100
	v_fma_f32 v45, v85, 2.0, -v75
	v_fma_f32 v47, v65, 2.0, -v26
	;; [unrolled: 1-line block ×4, first 2 shown]
	ds_write2_b32 v46, v28, v63 offset0:72 offset1:172
	v_sub_f32_e32 v28, v81, v33
	v_sub_f32_e32 v33, v47, v45
	v_fma_f32 v25, v67, 2.0, -v25
	ds_write2_b32 v78, v31, v48 offset1:100
	v_sub_f32_e32 v45, v26, v70
	v_fma_f32 v31, v81, 2.0, -v28
	v_fma_f32 v46, v47, 2.0, -v33
	v_mul_u32_u24_e32 v47, 3, v1
	ds_write2_b32 v79, v30, v27 offset0:72 offset1:172
	v_fma_f32 v26, v26, 2.0, -v45
	v_sub_f32_e32 v27, v31, v25
	v_sub_f32_e32 v30, v28, v32
	v_lshlrev_b32_e32 v25, 3, v47
	ds_write2_b32 v29, v33, v45 offset0:72 offset1:172
	ds_write2_b32 v77, v46, v26 offset1:100
	v_fma_f32 v26, v31, 2.0, -v27
	v_fma_f32 v28, v28, 2.0, -v30
	v_add_co_u32 v33, s0, s12, v25
	v_add_co_ci_u32_e64 v75, null, s13, 0, s0
	ds_write2_b32 v18, v26, v28 offset1:100
	v_add_co_u32 v25, s0, 0x800, v33
	v_add_co_ci_u32_e64 v26, s0, 0, v75, s0
	ds_write2_b32 v66, v27, v30 offset0:72 offset1:172
	s_waitcnt lgkmcnt(0)
	s_barrier
	buffer_gl0_inv
	global_load_dwordx4 v[25:28], v[25:26], off offset:1072
	v_add_co_u32 v29, s0, 0x2000, v33
	v_add_co_ci_u32_e64 v30, s0, 0, v75, s0
	ds_read_b32 v18, v37
	v_add_co_u32 v45, s0, 0xc30, v33
	global_load_dwordx4 v[29:32], v[29:30], off offset:688
	v_add_co_ci_u32_e64 v46, s0, 0, v75, s0
	ds_read2_b32 v[63:64], v13 offset0:32 offset1:192
	global_load_dwordx2 v[65:66], v[45:46], off offset:16
	v_add_nc_u32_e32 v45, 0xffffffb0, v1
	ds_read_b32 v13, v39
	ds_read_b32 v77, v2
	;; [unrolled: 1-line block ×3, first 2 shown]
	ds_read2_b32 v[69:70], v43 offset0:32 offset1:192
	s_waitcnt vmcnt(2) lgkmcnt(5)
	v_mul_f32_e32 v79, v18, v26
	v_mul_f32_e32 v26, v72, v26
	s_waitcnt lgkmcnt(4)
	v_mul_f32_e32 v82, v64, v28
	v_mul_f32_e32 v28, v52, v28
	v_fmac_f32_e32 v79, v72, v25
	v_fma_f32 v80, v18, v25, -v26
	v_add_co_u32 v25, s0, 0x1000, v33
	v_add_co_ci_u32_e64 v26, s0, 0, v75, s0
	v_cmp_gt_u32_e64 s0, 0x50, v1
	v_mul_i32_i24_e32 v18, 3, v10
	v_fmac_f32_e32 v82, v52, v27
	s_waitcnt vmcnt(1) lgkmcnt(0)
	v_mul_f32_e32 v84, v70, v32
	v_mul_f32_e32 v32, v62, v32
	v_cndmask_b32_e64 v81, v45, v7, s0
	v_lshlrev_b64 v[67:68], 3, v[18:19]
	global_load_dwordx4 v[45:48], v[25:26], off offset:944
	v_add_co_u32 v25, s0, 0x22b0, v33
	v_mul_i32_i24_e32 v18, 3, v81
	v_add_co_ci_u32_e64 v26, s0, 0, v75, s0
	v_fmac_f32_e32 v84, v62, v31
	v_fma_f32 v85, v70, v31, -v32
	v_lshlrev_b64 v[71:72], 3, v[18:19]
	global_load_dwordx2 v[73:74], v[25:26], off offset:16
	v_fma_f32 v18, v64, v27, -v28
	v_mul_f32_e32 v27, v51, v30
	v_mul_f32_e32 v64, v63, v30
	v_add_co_u32 v71, s0, s12, v71
	v_add_co_ci_u32_e64 v72, s0, s13, v72, s0
	v_fma_f32 v83, v63, v29, -v27
	v_add_co_u32 v25, s0, 0x800, v71
	v_add_co_ci_u32_e64 v26, s0, 0, v72, s0
	v_fmac_f32_e32 v64, v51, v29
	v_add_co_u32 v51, s0, s12, v67
	global_load_dwordx4 v[25:28], v[25:26], off offset:1072
	v_add_co_ci_u32_e64 v52, s0, s13, v68, s0
	v_add_co_u32 v29, s0, 0x800, v51
	v_add_co_ci_u32_e64 v30, s0, 0, v52, s0
	v_add_co_u32 v51, s0, 0xc30, v51
	v_add_co_ci_u32_e64 v52, s0, 0, v52, s0
	global_load_dwordx4 v[29:32], v[29:30], off offset:1072
	v_add_co_u32 v62, s0, 0xc30, v71
	v_add_co_ci_u32_e64 v63, s0, 0, v72, s0
	v_add_co_u32 v67, s0, 0x13b0, v33
	v_add_co_ci_u32_e64 v68, s0, 0, v75, s0
	s_clause 0x2
	global_load_dwordx2 v[51:52], v[51:52], off offset:16
	global_load_dwordx2 v[62:63], v[62:63], off offset:16
	;; [unrolled: 1-line block ×3, first 2 shown]
	ds_read2_b32 v[70:71], v9 offset0:32 offset1:192
	ds_read2_b32 v[75:76], v35 offset0:32 offset1:192
	v_cmp_lt_u32_e64 s0, 0x4f, v1
	s_waitcnt vmcnt(6)
	v_mul_f32_e32 v9, v69, v48
	v_mul_f32_e32 v33, v61, v48
	v_fmac_f32_e32 v9, v61, v47
	v_fma_f32 v61, v69, v47, -v33
	s_waitcnt lgkmcnt(1)
	v_mul_f32_e32 v33, v71, v46
	v_mul_f32_e32 v46, v58, v46
	v_sub_f32_e32 v9, v20, v9
	v_fmac_f32_e32 v33, v58, v45
	v_fma_f32 v58, v71, v45, -v46
	ds_read2st64_b32 v[45:46], v34 offset1:15
	v_fma_f32 v20, v20, 2.0, -v9
	s_waitcnt vmcnt(4)
	v_mul_f32_e32 v47, v70, v26
	v_mul_f32_e32 v26, v57, v26
	s_waitcnt lgkmcnt(1)
	v_mul_f32_e32 v48, v76, v28
	v_mul_f32_e32 v28, v56, v28
	v_fmac_f32_e32 v47, v57, v25
	v_fma_f32 v57, v70, v25, -v26
	ds_read2_b32 v[25:26], v38 offset0:32 offset1:192
	v_fmac_f32_e32 v48, v56, v27
	v_fma_f32 v56, v76, v27, -v28
	ds_read2_b32 v[27:28], v44 offset0:32 offset1:192
	s_waitcnt lgkmcnt(2)
	v_sub_f32_e32 v18, v45, v18
	s_waitcnt vmcnt(3)
	v_mul_f32_e32 v69, v75, v32
	v_mul_f32_e32 v32, v55, v32
	v_fmac_f32_e32 v69, v55, v31
	v_mul_f32_e32 v55, v46, v30
	v_mul_f32_e32 v30, v50, v30
	v_fma_f32 v70, v75, v31, -v32
	ds_read_b32 v32, v34 offset:12160
	v_mul_f32_e32 v31, v53, v66
	v_fmac_f32_e32 v55, v50, v29
	v_fma_f32 v29, v46, v29, -v30
	s_waitcnt vmcnt(2)
	v_mul_f32_e32 v46, v54, v52
	v_sub_f32_e32 v70, v77, v70
	s_waitcnt lgkmcnt(2)
	v_mul_f32_e32 v30, v25, v66
	v_fma_f32 v25, v25, v65, -v31
	v_mul_f32_e32 v31, v26, v52
	s_waitcnt vmcnt(1) lgkmcnt(1)
	v_mul_f32_e32 v50, v27, v63
	v_mul_f32_e32 v52, v59, v63
	v_fmac_f32_e32 v30, v53, v65
	v_fma_f32 v26, v26, v51, -v46
	v_fmac_f32_e32 v31, v54, v51
	v_sub_f32_e32 v46, v49, v82
	s_waitcnt vmcnt(0)
	v_mul_f32_e32 v53, v28, v68
	v_sub_f32_e32 v54, v79, v30
	v_fmac_f32_e32 v50, v59, v62
	ds_read_b32 v59, v36
	v_fma_f32 v27, v27, v62, -v52
	s_waitcnt lgkmcnt(1)
	v_mul_f32_e32 v51, v32, v74
	v_fma_f32 v49, v49, 2.0, -v46
	v_fma_f32 v52, v79, 2.0, -v54
	v_fmac_f32_e32 v53, v60, v67
	v_mul_f32_e32 v30, v60, v68
	v_mul_f32_e32 v60, v24, v74
	v_sub_f32_e32 v25, v80, v25
	v_fmac_f32_e32 v51, v24, v73
	v_sub_f32_e32 v24, v49, v52
	v_fma_f32 v28, v28, v67, -v30
	v_fma_f32 v30, v32, v73, -v60
	v_add_f32_e32 v32, v46, v25
	v_sub_f32_e32 v60, v55, v31
	v_fma_f32 v31, v49, 2.0, -v24
	v_sub_f32_e32 v52, v23, v69
	s_waitcnt lgkmcnt(0)
	v_fma_f32 v46, v46, 2.0, -v32
	v_fma_f32 v49, v55, 2.0, -v60
	s_barrier
	buffer_gl0_inv
	ds_write_b32 v34, v31
	ds_write_b32 v34, v46 offset:1600
	v_sub_f32_e32 v46, v22, v48
	v_sub_f32_e32 v55, v47, v50
	v_fma_f32 v23, v23, 2.0, -v52
	v_sub_f32_e32 v26, v29, v26
	ds_write_b32 v34, v24 offset:3200
	v_fma_f32 v22, v22, 2.0, -v46
	v_fma_f32 v24, v47, 2.0, -v55
	v_sub_f32_e32 v31, v23, v49
	v_add_f32_e32 v47, v52, v26
	v_lshlrev_b32_e32 v48, 2, v81
	v_cndmask_b32_e64 v49, 0, 0x1900, s0
	v_sub_f32_e32 v24, v22, v24
	v_fma_f32 v23, v23, 2.0, -v31
	ds_write_b32 v34, v32 offset:4800
	v_fma_f32 v32, v52, 2.0, -v47
	v_sub_f32_e32 v63, v57, v27
	v_add3_u32 v62, 0, v49, v48
	v_fma_f32 v22, v22, 2.0, -v24
	ds_write_b32 v2, v23
	ds_write_b32 v2, v32 offset:1600
	ds_write_b32 v2, v31 offset:3200
	;; [unrolled: 1-line block ×3, first 2 shown]
	ds_write_b32 v62, v22
	v_add_f32_e32 v22, v46, v63
	v_sub_f32_e32 v53, v33, v53
	v_sub_f32_e32 v23, v21, v84
	;; [unrolled: 1-line block ×4, first 2 shown]
	v_fma_f32 v27, v46, 2.0, -v22
	v_fma_f32 v31, v33, 2.0, -v53
	;; [unrolled: 1-line block ×4, first 2 shown]
	v_sub_f32_e32 v64, v58, v28
	ds_write_b32 v62, v27 offset:1600
	ds_write_b32 v62, v24 offset:3200
	;; [unrolled: 1-line block ×3, first 2 shown]
	v_sub_f32_e32 v22, v20, v31
	v_lshl_add_u32 v27, v1, 2, 0
	v_sub_f32_e32 v24, v21, v32
	v_add_f32_e32 v28, v9, v64
	v_add_f32_e32 v30, v23, v66
	v_fma_f32 v31, v45, 2.0, -v18
	v_fma_f32 v25, v80, 2.0, -v25
	;; [unrolled: 1-line block ×4, first 2 shown]
	v_add_nc_u32_e32 v67, 0x1a00, v27
	v_fma_f32 v9, v9, 2.0, -v28
	v_fma_f32 v23, v23, 2.0, -v30
	v_add_nc_u32_e32 v68, 0x2000, v27
	v_add_nc_u32_e32 v69, 0x2600, v27
	;; [unrolled: 1-line block ×3, first 2 shown]
	v_sub_f32_e32 v72, v31, v25
	v_lshl_add_u32 v51, v16, 2, 0
	ds_write2_b32 v67, v20, v21 offset0:16 offset1:176
	ds_write2_b32 v68, v9, v23 offset0:32 offset1:192
	;; [unrolled: 1-line block ×4, first 2 shown]
	v_fma_f32 v9, v29, 2.0, -v26
	v_sub_f32_e32 v54, v18, v54
	v_fma_f32 v74, v77, 2.0, -v70
	v_fma_f32 v73, v31, 2.0, -v72
	s_waitcnt lgkmcnt(0)
	s_barrier
	buffer_gl0_inv
	ds_read_b32 v33, v41
	v_lshl_add_u32 v52, v17, 2, 0
	ds_read_b32 v47, v51
	ds_read_b32 v32, v39
	;; [unrolled: 1-line block ×8, first 2 shown]
	ds_read_b32 v50, v34 offset:12160
	ds_read2st64_b32 v[20:21], v34 offset1:25
	ds_read2_b32 v[22:23], v35 offset0:32 offset1:192
	v_sub_f32_e32 v56, v59, v56
	v_fma_f32 v18, v18, 2.0, -v54
	v_sub_f32_e32 v9, v74, v9
	v_sub_f32_e32 v60, v70, v60
	v_fma_f32 v57, v57, 2.0, -v63
	v_fma_f32 v59, v59, 2.0, -v56
	ds_read2_b32 v[24:25], v43 offset0:32 offset1:192
	ds_read2_b32 v[26:27], v38 offset0:32 offset1:192
	ds_read2_b32 v[28:29], v44 offset0:32 offset1:192
	s_waitcnt lgkmcnt(0)
	s_barrier
	buffer_gl0_inv
	ds_write_b32 v34, v18 offset:1600
	v_fma_f32 v18, v74, 2.0, -v9
	v_fma_f32 v63, v70, 2.0, -v60
	ds_write_b32 v34, v73
	ds_write_b32 v34, v72 offset:3200
	ds_write_b32 v34, v54 offset:4800
	ds_write_b32 v2, v18
	v_sub_f32_e32 v18, v59, v57
	ds_write_b32 v2, v63 offset:1600
	ds_write_b32 v2, v9 offset:3200
	v_sub_f32_e32 v9, v13, v61
	v_sub_f32_e32 v54, v78, v85
	v_fma_f32 v57, v59, 2.0, -v18
	v_fma_f32 v58, v58, 2.0, -v64
	v_fma_f32 v59, v83, 2.0, -v66
	v_fma_f32 v13, v13, 2.0, -v9
	v_fma_f32 v61, v78, 2.0, -v54
	ds_write_b32 v2, v60 offset:4800
	ds_write_b32 v62, v57
	v_sub_f32_e32 v2, v56, v55
	v_sub_f32_e32 v53, v9, v53
	;; [unrolled: 1-line block ×5, first 2 shown]
	v_fma_f32 v56, v56, 2.0, -v2
	v_fma_f32 v9, v9, 2.0, -v53
	;; [unrolled: 1-line block ×5, first 2 shown]
	ds_write_b32 v62, v56 offset:1600
	ds_write_b32 v62, v18 offset:3200
	;; [unrolled: 1-line block ×3, first 2 shown]
	ds_write2_b32 v67, v13, v59 offset0:16 offset1:176
	ds_write2_b32 v68, v9, v54 offset0:32 offset1:192
	;; [unrolled: 1-line block ×4, first 2 shown]
	s_waitcnt lgkmcnt(0)
	s_barrier
	buffer_gl0_inv
	s_and_saveexec_b32 s0, vcc_lo
	s_cbranch_execz .LBB0_15
; %bb.14:
	v_mov_b32_e32 v18, v19
	v_mov_b32_e32 v13, v19
	v_lshlrev_b64 v[53:54], 3, v[17:18]
	v_lshlrev_b64 v[12:13], 3, v[12:13]
	v_mov_b32_e32 v17, v19
	v_add_co_u32 v2, vcc_lo, s12, v53
	v_add_co_ci_u32_e32 v9, vcc_lo, s13, v54, vcc_lo
	v_add_co_u32 v12, vcc_lo, s12, v12
	v_add_co_ci_u32_e32 v13, vcc_lo, s13, v13, vcc_lo
	v_add_co_u32 v53, vcc_lo, 0x3000, v2
	v_lshlrev_b64 v[16:17], 3, v[16:17]
	v_add_co_ci_u32_e32 v54, vcc_lo, 0, v9, vcc_lo
	v_add_co_u32 v55, vcc_lo, 0x3000, v12
	v_mov_b32_e32 v12, v19
	v_add_co_ci_u32_e32 v56, vcc_lo, 0, v13, vcc_lo
	v_add_co_u32 v2, vcc_lo, s12, v16
	v_add_co_ci_u32_e32 v9, vcc_lo, s13, v17, vcc_lo
	v_lshlrev_b64 v[11:12], 3, v[11:12]
	v_add_co_u32 v17, vcc_lo, 0x3000, v2
	v_add_co_ci_u32_e32 v18, vcc_lo, 0, v9, vcc_lo
	v_mov_b32_e32 v16, v19
	v_add_co_u32 v2, vcc_lo, s12, v11
	v_add_co_ci_u32_e32 v9, vcc_lo, s13, v12, vcc_lo
	v_lshlrev_b64 v[15:16], 3, v[15:16]
	v_add_co_u32 v11, vcc_lo, 0x3000, v2
	v_add_co_ci_u32_e32 v12, vcc_lo, 0, v9, vcc_lo
	v_mov_b32_e32 v9, v19
	v_add_co_u32 v2, vcc_lo, s12, v15
	s_clause 0x3
	global_load_dwordx2 v[53:54], v[53:54], off offset:432
	global_load_dwordx2 v[55:56], v[55:56], off offset:432
	;; [unrolled: 1-line block ×4, first 2 shown]
	v_add_co_ci_u32_e32 v11, vcc_lo, s13, v16, vcc_lo
	v_lshlrev_b64 v[8:9], 3, v[8:9]
	v_add_co_u32 v57, vcc_lo, 0x3000, v2
	v_add_co_ci_u32_e32 v58, vcc_lo, 0, v11, vcc_lo
	v_mov_b32_e32 v15, v19
	v_add_co_u32 v2, vcc_lo, s12, v8
	v_add_co_ci_u32_e32 v8, vcc_lo, s13, v9, vcc_lo
	v_lshlrev_b64 v[14:15], 3, v[14:15]
	v_add_co_u32 v59, vcc_lo, 0x3000, v2
	v_add_co_ci_u32_e32 v60, vcc_lo, 0, v8, vcc_lo
	v_mov_b32_e32 v8, v19
	v_add_co_u32 v2, vcc_lo, s12, v14
	;; [unrolled: 6-line block ×3, first 2 shown]
	v_add_co_ci_u32_e32 v8, vcc_lo, s13, v8, vcc_lo
	v_lshlrev_b64 v[61:62], 3, v[10:11]
	v_add_co_u32 v7, vcc_lo, 0x3000, v2
	v_add_co_ci_u32_e32 v8, vcc_lo, 0, v8, vcc_lo
	s_clause 0x3
	global_load_dwordx2 v[57:58], v[57:58], off offset:432
	global_load_dwordx2 v[59:60], v[59:60], off offset:432
	global_load_dwordx2 v[14:15], v[14:15], off offset:432
	global_load_dwordx2 v[7:8], v[7:8], off offset:432
	v_mov_b32_e32 v2, v19
	v_mul_lo_u32 v19, s4, v6
	v_lshlrev_b64 v[63:64], 3, v[1:2]
	v_add_co_u32 v2, vcc_lo, s12, v61
	v_add_co_ci_u32_e32 v9, vcc_lo, s13, v62, vcc_lo
	v_add_co_u32 v11, vcc_lo, s12, v63
	v_add_co_ci_u32_e32 v16, vcc_lo, s13, v64, vcc_lo
	;; [unrolled: 2-line block ×4, first 2 shown]
	s_clause 0x1
	global_load_dwordx2 v[61:62], v[61:62], off offset:432
	global_load_dwordx2 v[63:64], v[63:64], off offset:432
	v_mul_i32_i24_e32 v11, 0xffffffdc, v10
	v_mul_lo_u32 v16, s5, v5
	v_mad_u64_u32 v[5:6], null, s4, v5, 0
	ds_read_b32 v81, v52
	ds_read_b32 v82, v34 offset:12160
	ds_read2_b32 v[9:10], v44 offset0:32 offset1:192
	ds_read2_b32 v[65:66], v38 offset0:32 offset1:192
	;; [unrolled: 1-line block ×3, first 2 shown]
	ds_read_b32 v83, v51
	ds_read_b32 v84, v39
	;; [unrolled: 1-line block ×7, first 2 shown]
	v_mul_hi_u32 v36, 0x51eb851f, v1
	v_add_nc_u32_e32 v37, 0xa0, v1
	v_add_nc_u32_e32 v38, 0x140, v1
	;; [unrolled: 1-line block ×5, first 2 shown]
	v_mul_hi_u32 v42, 0x51eb851f, v37
	v_mul_hi_u32 v51, 0x51eb851f, v38
	v_lshlrev_b64 v[2:3], 3, v[3:4]
	v_lshrrev_b32_e32 v4, 9, v36
	v_add3_u32 v6, v6, v19, v16
	v_mul_hi_u32 v52, 0x51eb851f, v39
	v_mul_hi_u32 v16, 0x51eb851f, v40
	;; [unrolled: 1-line block ×3, first 2 shown]
	v_add_nc_u32_e32 v90, v0, v11
	v_mul_u32_u24_e32 v0, 0x640, v4
	v_lshlrev_b64 v[4:5], 3, v[5:6]
	v_lshrrev_b32_e32 v6, 9, v42
	v_lshrrev_b32_e32 v11, 9, v51
	;; [unrolled: 1-line block ×4, first 2 shown]
	v_sub_nc_u32_e32 v42, v1, v0
	v_mul_u32_u24_e32 v0, 0x640, v6
	v_lshrrev_b32_e32 v19, 9, v19
	v_mul_u32_u24_e32 v51, 0x640, v11
	v_add_co_u32 v69, vcc_lo, s10, v4
	v_mul_u32_u24_e32 v52, 0x640, v36
	v_mul_u32_u24_e32 v67, 0x640, v16
	v_add_co_ci_u32_e32 v70, vcc_lo, s11, v5, vcc_lo
	v_mad_u64_u32 v[4:5], null, s2, v42, 0
	v_add_nc_u32_e32 v71, 0x640, v42
	v_sub_nc_u32_e32 v0, v37, v0
	v_mul_u32_u24_e32 v68, 0x640, v19
	v_sub_nc_u32_e32 v37, v38, v51
	v_add_co_u32 v91, vcc_lo, v69, v2
	v_sub_nc_u32_e32 v38, v39, v52
	v_sub_nc_u32_e32 v39, v40, v67
	v_add_co_ci_u32_e32 v92, vcc_lo, v70, v3, vcc_lo
	v_mad_u64_u32 v[2:3], null, s2, v71, 0
	v_mad_u32_u24 v72, 0xc80, v6, v0
	v_sub_nc_u32_e32 v40, v41, v68
	v_mad_u32_u24 v11, 0xc80, v11, v37
	v_mov_b32_e32 v0, v5
	v_mad_u32_u24 v73, 0xc80, v36, v38
	v_mad_u32_u24 v16, 0xc80, v16, v39
	v_mad_u64_u32 v[36:37], null, s2, v72, 0
	v_mad_u32_u24 v93, 0xc80, v19, v40
	v_add_nc_u32_e32 v19, 0x640, v72
	v_mad_u64_u32 v[38:39], null, s2, v11, 0
	v_mad_u64_u32 v[5:6], null, s3, v42, v[0:1]
	v_mov_b32_e32 v0, v3
	v_mad_u64_u32 v[40:41], null, s2, v73, 0
	v_mad_u64_u32 v[51:52], null, s2, v16, 0
	;; [unrolled: 1-line block ×4, first 2 shown]
	v_mov_b32_e32 v0, v37
	v_mov_b32_e32 v3, v39
	v_mov_b32_e32 v6, v41
	v_add_nc_u32_e32 v77, 0x640, v11
	v_add_nc_u32_e32 v79, 0x640, v73
	v_mad_u64_u32 v[41:42], null, s3, v72, v[0:1]
	v_mov_b32_e32 v0, v52
	v_mad_u64_u32 v[70:71], null, s3, v11, v[3:4]
	v_mov_b32_e32 v11, v68
	v_mov_b32_e32 v3, v69
	v_mad_u64_u32 v[71:72], null, s3, v16, v[0:1]
	v_mad_u64_u32 v[75:76], null, s2, v79, 0
	v_lshlrev_b64 v[4:5], 3, v[4:5]
	v_mov_b32_e32 v37, v41
	v_add_nc_u32_e32 v94, 0x640, v16
	v_lshlrev_b64 v[2:3], 3, v[2:3]
	v_mov_b32_e32 v39, v70
	v_mov_b32_e32 v52, v71
	v_add_co_u32 v4, vcc_lo, v91, v4
	v_lshlrev_b64 v[36:37], 3, v[36:37]
	v_add_co_ci_u32_e32 v5, vcc_lo, v92, v5, vcc_lo
	v_lshlrev_b64 v[38:39], 3, v[38:39]
	v_add_co_u32 v2, vcc_lo, v91, v2
	v_add_co_ci_u32_e32 v3, vcc_lo, v92, v3, vcc_lo
	v_add_co_u32 v36, vcc_lo, v91, v36
	v_add_co_ci_u32_e32 v37, vcc_lo, v92, v37, vcc_lo
	;; [unrolled: 2-line block ×3, first 2 shown]
	s_waitcnt vmcnt(9)
	v_mul_f32_e32 v16, v50, v54
	s_waitcnt lgkmcnt(10)
	v_fma_f32 v16, v53, v82, -v16
	s_waitcnt vmcnt(4) lgkmcnt(7)
	v_mul_f32_e32 v42, v44, v60
	s_waitcnt vmcnt(2)
	v_mad_u64_u32 v[68:69], null, s3, v73, v[6:7]
	v_mad_u64_u32 v[72:73], null, s3, v19, v[11:12]
	;; [unrolled: 1-line block ×3, first 2 shown]
	v_mov_b32_e32 v6, v76
	v_mul_f32_e32 v19, v28, v18
	v_mul_f32_e32 v11, v10, v56
	;; [unrolled: 1-line block ×3, first 2 shown]
	v_mov_b32_e32 v41, v68
	v_mad_u64_u32 v[79:80], null, s3, v79, v[6:7]
	v_mov_b32_e32 v0, v74
	v_mul_f32_e32 v6, v29, v56
	v_fma_f32 v19, v17, v9, -v19
	v_mul_f32_e32 v9, v27, v13
	v_fmac_f32_e32 v11, v29, v55
	v_mad_u64_u32 v[76:77], null, s3, v77, v[0:1]
	ds_read2_b32 v[77:78], v35 offset0:32 offset1:192
	ds_read2st64_b32 v[34:35], v34 offset1:25
	ds_read_b32 v80, v90
	v_fma_f32 v10, v55, v10, -v6
	v_mul_f32_e32 v6, v82, v54
	v_mul_f32_e32 v29, v66, v13
	v_fmac_f32_e32 v18, v28, v17
	v_mul_f32_e32 v13, v26, v58
	v_mul_f32_e32 v17, v65, v58
	;; [unrolled: 1-line block ×4, first 2 shown]
	v_fma_f32 v55, v12, v66, -v9
	s_waitcnt vmcnt(0)
	v_mul_f32_e32 v9, v21, v64
	v_fmac_f32_e32 v6, v50, v53
	v_mul_f32_e32 v50, v43, v15
	v_mul_f32_e32 v15, v23, v8
	v_fmac_f32_e32 v29, v27, v12
	v_mad_u64_u32 v[69:70], null, s2, v94, 0
	v_mov_b32_e32 v68, v72
	v_fmac_f32_e32 v17, v26, v57
	s_waitcnt lgkmcnt(1)
	v_mul_f32_e32 v58, v35, v64
	v_mul_f32_e32 v53, v78, v8
	;; [unrolled: 1-line block ×4, first 2 shown]
	v_fma_f32 v26, v59, v44, -v28
	v_fmac_f32_e32 v42, v25, v59
	v_fma_f32 v25, v14, v43, -v54
	v_fma_f32 v28, v63, v35, -v9
	v_fmac_f32_e32 v58, v21, v63
	v_lshlrev_b64 v[40:41], 3, v[40:41]
	v_mov_b32_e32 v74, v76
	v_fmac_f32_e32 v50, v24, v14
	v_fma_f32 v24, v7, v78, -v15
	v_fmac_f32_e32 v53, v23, v7
	v_fma_f32 v23, v61, v77, -v8
	v_fmac_f32_e32 v27, v22, v61
	v_lshlrev_b64 v[67:68], 3, v[67:68]
	v_sub_f32_e32 v8, v48, v11
	v_sub_f32_e32 v11, v83, v19
	;; [unrolled: 1-line block ×7, first 2 shown]
	v_mov_b32_e32 v0, v70
	v_lshlrev_b64 v[70:71], 3, v[73:74]
	v_add_co_u32 v40, vcc_lo, v91, v40
	v_fma_f32 v56, v57, v65, -v13
	v_sub_f32_e32 v22, v89, v24
	s_waitcnt lgkmcnt(0)
	v_sub_f32_e32 v24, v80, v23
	v_sub_f32_e32 v23, v30, v27
	v_add_co_ci_u32_e32 v41, vcc_lo, v92, v41, vcc_lo
	v_sub_f32_e32 v21, v31, v53
	v_add_co_u32 v67, vcc_lo, v91, v67
	v_sub_f32_e32 v6, v49, v6
	v_sub_f32_e32 v9, v86, v10
	;; [unrolled: 1-line block ×5, first 2 shown]
	v_fma_f32 v35, v34, 2.0, -v26
	v_fma_f32 v34, v20, 2.0, -v25
	v_add_co_ci_u32_e32 v68, vcc_lo, v92, v68, vcc_lo
	v_sub_f32_e32 v13, v87, v55
	v_sub_f32_e32 v15, v85, v56
	v_fma_f32 v56, v80, 2.0, -v24
	v_fma_f32 v55, v30, 2.0, -v23
	v_add_co_u32 v70, vcc_lo, v91, v70
	v_fma_f32 v30, v89, 2.0, -v22
	v_fma_f32 v29, v31, 2.0, -v21
	v_add_co_ci_u32_e32 v71, vcc_lo, v92, v71, vcc_lo
	v_fma_f32 v27, v49, 2.0, -v6
	v_fma_f32 v49, v33, 2.0, -v12
	;; [unrolled: 1-line block ×4, first 2 shown]
	global_store_dwordx2 v[4:5], v[34:35], off
	global_store_dwordx2 v[2:3], v[25:26], off
	;; [unrolled: 1-line block ×7, first 2 shown]
	v_mad_u64_u32 v[2:3], null, s3, v94, v[0:1]
	v_add_nc_u32_e32 v32, 0x3c0, v1
	v_mov_b32_e32 v76, v79
	v_mad_u64_u32 v[3:4], null, s2, v93, 0
	v_add_nc_u32_e32 v31, 0x640, v93
	v_lshlrev_b64 v[22:23], 3, v[51:52]
	v_mov_b32_e32 v70, v2
	v_mul_hi_u32 v2, 0x51eb851f, v32
	v_lshlrev_b64 v[72:73], 3, v[75:76]
	v_mad_u64_u32 v[24:25], null, s2, v31, 0
	v_mov_b32_e32 v0, v4
	v_lshlrev_b64 v[4:5], 3, v[69:70]
	v_sub_f32_e32 v7, v81, v16
	v_add_co_u32 v20, vcc_lo, v91, v72
	v_lshrrev_b32_e32 v2, 9, v2
	v_sub_f32_e32 v16, v46, v42
	v_add_co_ci_u32_e32 v21, vcc_lo, v92, v73, vcc_lo
	v_add_co_u32 v22, vcc_lo, v91, v22
	v_mad_u64_u32 v[29:30], null, s3, v93, v[0:1]
	v_mov_b32_e32 v0, v25
	v_mul_u32_u24_e32 v33, 0x640, v2
	v_add_co_ci_u32_e32 v23, vcc_lo, v92, v23, vcc_lo
	v_add_co_u32 v25, vcc_lo, v91, v4
	v_fma_f32 v53, v45, 2.0, -v14
	v_fma_f32 v45, v88, 2.0, -v17
	;; [unrolled: 1-line block ×3, first 2 shown]
	v_add_co_ci_u32_e32 v26, vcc_lo, v92, v5, vcc_lo
	v_mad_u64_u32 v[30:31], null, s3, v31, v[0:1]
	v_sub_nc_u32_e32 v0, v32, v33
	global_store_dwordx2 v[20:21], v[18:19], off
	global_store_dwordx2 v[22:23], v[44:45], off
	;; [unrolled: 1-line block ×3, first 2 shown]
	v_add_nc_u32_e32 v22, 0x460, v1
	v_mov_b32_e32 v4, v29
	v_mad_u32_u24 v20, 0xc80, v2, v0
	v_mov_b32_e32 v25, v30
	v_fma_f32 v54, v85, 2.0, -v15
	v_mul_hi_u32 v18, 0x51eb851f, v22
	v_lshlrev_b64 v[2:3], 3, v[3:4]
	v_mad_u64_u32 v[4:5], null, s2, v20, 0
	v_add_nc_u32_e32 v23, 0x640, v20
	v_lshlrev_b64 v[16:17], 3, v[24:25]
	v_fma_f32 v50, v87, 2.0, -v13
	v_add_co_u32 v2, vcc_lo, v91, v2
	v_lshrrev_b32_e32 v24, 9, v18
	v_mov_b32_e32 v0, v5
	v_mad_u64_u32 v[18:19], null, s2, v23, 0
	v_add_co_ci_u32_e32 v3, vcc_lo, v92, v3, vcc_lo
	v_mul_u32_u24_e32 v5, 0x640, v24
	v_mad_u64_u32 v[20:21], null, s3, v20, v[0:1]
	v_add_nc_u32_e32 v21, 0x500, v1
	v_mov_b32_e32 v0, v19
	v_sub_nc_u32_e32 v22, v22, v5
	v_add_co_u32 v16, vcc_lo, v91, v16
	v_add_co_ci_u32_e32 v17, vcc_lo, v92, v17, vcc_lo
	v_mov_b32_e32 v5, v20
	v_mad_u64_u32 v[19:20], null, s3, v23, v[0:1]
	v_mad_u32_u24 v20, 0xc80, v24, v22
	v_mul_hi_u32 v0, 0x51eb851f, v21
	global_store_dwordx2 v[2:3], v[53:54], off
	global_store_dwordx2 v[16:17], v[14:15], off
	v_lshlrev_b64 v[2:3], 3, v[4:5]
	v_fma_f32 v42, v48, 2.0, -v8
	v_mad_u64_u32 v[4:5], null, s2, v20, 0
	v_lshlrev_b64 v[14:15], 3, v[18:19]
	v_add_nc_u32_e32 v19, 0x5a0, v1
	v_lshrrev_b32_e32 v22, 9, v0
	v_add_nc_u32_e32 v18, 0x640, v20
	v_add_co_u32 v2, vcc_lo, v91, v2
	v_mov_b32_e32 v0, v5
	v_mul_u32_u24_e32 v5, 0x640, v22
	v_mad_u64_u32 v[16:17], null, s2, v18, 0
	v_add_co_ci_u32_e32 v3, vcc_lo, v92, v3, vcc_lo
	v_mad_u64_u32 v[0:1], null, s3, v20, v[0:1]
	v_mul_hi_u32 v20, 0x51eb851f, v19
	v_sub_nc_u32_e32 v1, v21, v5
	v_add_co_u32 v14, vcc_lo, v91, v14
	v_add_co_ci_u32_e32 v15, vcc_lo, v92, v15, vcc_lo
	v_mad_u32_u24 v21, 0xc80, v22, v1
	v_mov_b32_e32 v5, v0
	v_lshrrev_b32_e32 v20, 9, v20
	global_store_dwordx2 v[2:3], v[49:50], off
	v_mov_b32_e32 v2, v17
	v_add_nc_u32_e32 v17, 0x640, v21
	v_lshlrev_b64 v[0:1], 3, v[4:5]
	v_mul_u32_u24_e32 v5, 0x640, v20
	v_mad_u64_u32 v[3:4], null, s2, v21, 0
	global_store_dwordx2 v[14:15], v[12:13], off
	v_mad_u64_u32 v[12:13], null, s2, v17, 0
	v_sub_nc_u32_e32 v5, v19, v5
	v_add_co_u32 v0, vcc_lo, v91, v0
	v_mad_u64_u32 v[14:15], null, s3, v18, v[2:3]
	v_mad_u32_u24 v22, 0xc80, v20, v5
	v_mov_b32_e32 v2, v13
	v_mad_u64_u32 v[4:5], null, s3, v21, v[4:5]
	v_fma_f32 v48, v83, 2.0, -v11
	v_mad_u64_u32 v[18:19], null, s2, v22, 0
	v_add_nc_u32_e32 v5, 0x640, v22
	v_fma_f32 v47, v47, 2.0, -v10
	v_add_co_ci_u32_e32 v1, vcc_lo, v92, v1, vcc_lo
	v_mad_u64_u32 v[20:21], null, s3, v17, v[2:3]
	v_mov_b32_e32 v17, v14
	v_mad_u64_u32 v[14:15], null, s2, v5, 0
	global_store_dwordx2 v[0:1], v[47:48], off
	v_mov_b32_e32 v0, v19
	v_lshlrev_b64 v[1:2], 3, v[16:17]
	v_mov_b32_e32 v13, v20
	v_lshlrev_b64 v[3:4], 3, v[3:4]
	v_fma_f32 v43, v86, 2.0, -v9
	v_fma_f32 v28, v81, 2.0, -v7
	v_mad_u64_u32 v[16:17], null, s3, v22, v[0:1]
	v_mov_b32_e32 v0, v15
	v_add_co_u32 v1, vcc_lo, v91, v1
	v_lshlrev_b64 v[12:13], 3, v[12:13]
	v_add_co_ci_u32_e32 v2, vcc_lo, v92, v2, vcc_lo
	v_mad_u64_u32 v[20:21], null, s3, v5, v[0:1]
	v_mov_b32_e32 v19, v16
	v_add_co_u32 v3, vcc_lo, v91, v3
	v_add_co_ci_u32_e32 v4, vcc_lo, v92, v4, vcc_lo
	v_lshlrev_b64 v[16:17], 3, v[18:19]
	v_mov_b32_e32 v15, v20
	v_add_co_u32 v12, vcc_lo, v91, v12
	v_add_co_ci_u32_e32 v13, vcc_lo, v92, v13, vcc_lo
	v_lshlrev_b64 v[14:15], 3, v[14:15]
	v_add_co_u32 v16, vcc_lo, v91, v16
	v_add_co_ci_u32_e32 v17, vcc_lo, v92, v17, vcc_lo
	v_add_co_u32 v14, vcc_lo, v91, v14
	v_add_co_ci_u32_e32 v15, vcc_lo, v92, v15, vcc_lo
	global_store_dwordx2 v[1:2], v[10:11], off
	global_store_dwordx2 v[3:4], v[42:43], off
	;; [unrolled: 1-line block ×5, first 2 shown]
.LBB0_15:
	s_endpgm
	.section	.rodata,"a",@progbits
	.p2align	6, 0x0
	.amdhsa_kernel fft_rtc_back_len3200_factors_10_10_4_4_2_wgs_160_tpt_160_halfLds_sp_op_CI_CI_sbrr_dirReg
		.amdhsa_group_segment_fixed_size 0
		.amdhsa_private_segment_fixed_size 0
		.amdhsa_kernarg_size 104
		.amdhsa_user_sgpr_count 6
		.amdhsa_user_sgpr_private_segment_buffer 1
		.amdhsa_user_sgpr_dispatch_ptr 0
		.amdhsa_user_sgpr_queue_ptr 0
		.amdhsa_user_sgpr_kernarg_segment_ptr 1
		.amdhsa_user_sgpr_dispatch_id 0
		.amdhsa_user_sgpr_flat_scratch_init 0
		.amdhsa_user_sgpr_private_segment_size 0
		.amdhsa_wavefront_size32 1
		.amdhsa_uses_dynamic_stack 0
		.amdhsa_system_sgpr_private_segment_wavefront_offset 0
		.amdhsa_system_sgpr_workgroup_id_x 1
		.amdhsa_system_sgpr_workgroup_id_y 0
		.amdhsa_system_sgpr_workgroup_id_z 0
		.amdhsa_system_sgpr_workgroup_info 0
		.amdhsa_system_vgpr_workitem_id 0
		.amdhsa_next_free_vgpr 97
		.amdhsa_next_free_sgpr 31
		.amdhsa_reserve_vcc 1
		.amdhsa_reserve_flat_scratch 0
		.amdhsa_float_round_mode_32 0
		.amdhsa_float_round_mode_16_64 0
		.amdhsa_float_denorm_mode_32 3
		.amdhsa_float_denorm_mode_16_64 3
		.amdhsa_dx10_clamp 1
		.amdhsa_ieee_mode 1
		.amdhsa_fp16_overflow 0
		.amdhsa_workgroup_processor_mode 1
		.amdhsa_memory_ordered 1
		.amdhsa_forward_progress 0
		.amdhsa_shared_vgpr_count 0
		.amdhsa_exception_fp_ieee_invalid_op 0
		.amdhsa_exception_fp_denorm_src 0
		.amdhsa_exception_fp_ieee_div_zero 0
		.amdhsa_exception_fp_ieee_overflow 0
		.amdhsa_exception_fp_ieee_underflow 0
		.amdhsa_exception_fp_ieee_inexact 0
		.amdhsa_exception_int_div_zero 0
	.end_amdhsa_kernel
	.text
.Lfunc_end0:
	.size	fft_rtc_back_len3200_factors_10_10_4_4_2_wgs_160_tpt_160_halfLds_sp_op_CI_CI_sbrr_dirReg, .Lfunc_end0-fft_rtc_back_len3200_factors_10_10_4_4_2_wgs_160_tpt_160_halfLds_sp_op_CI_CI_sbrr_dirReg
                                        ; -- End function
	.section	.AMDGPU.csdata,"",@progbits
; Kernel info:
; codeLenInByte = 14088
; NumSgprs: 33
; NumVgprs: 97
; ScratchSize: 0
; MemoryBound: 0
; FloatMode: 240
; IeeeMode: 1
; LDSByteSize: 0 bytes/workgroup (compile time only)
; SGPRBlocks: 4
; VGPRBlocks: 12
; NumSGPRsForWavesPerEU: 33
; NumVGPRsForWavesPerEU: 97
; Occupancy: 9
; WaveLimiterHint : 1
; COMPUTE_PGM_RSRC2:SCRATCH_EN: 0
; COMPUTE_PGM_RSRC2:USER_SGPR: 6
; COMPUTE_PGM_RSRC2:TRAP_HANDLER: 0
; COMPUTE_PGM_RSRC2:TGID_X_EN: 1
; COMPUTE_PGM_RSRC2:TGID_Y_EN: 0
; COMPUTE_PGM_RSRC2:TGID_Z_EN: 0
; COMPUTE_PGM_RSRC2:TIDIG_COMP_CNT: 0
	.text
	.p2alignl 6, 3214868480
	.fill 48, 4, 3214868480
	.type	__hip_cuid_d7042bac51a305da,@object ; @__hip_cuid_d7042bac51a305da
	.section	.bss,"aw",@nobits
	.globl	__hip_cuid_d7042bac51a305da
__hip_cuid_d7042bac51a305da:
	.byte	0                               ; 0x0
	.size	__hip_cuid_d7042bac51a305da, 1

	.ident	"AMD clang version 19.0.0git (https://github.com/RadeonOpenCompute/llvm-project roc-6.4.0 25133 c7fe45cf4b819c5991fe208aaa96edf142730f1d)"
	.section	".note.GNU-stack","",@progbits
	.addrsig
	.addrsig_sym __hip_cuid_d7042bac51a305da
	.amdgpu_metadata
---
amdhsa.kernels:
  - .args:
      - .actual_access:  read_only
        .address_space:  global
        .offset:         0
        .size:           8
        .value_kind:     global_buffer
      - .offset:         8
        .size:           8
        .value_kind:     by_value
      - .actual_access:  read_only
        .address_space:  global
        .offset:         16
        .size:           8
        .value_kind:     global_buffer
      - .actual_access:  read_only
        .address_space:  global
        .offset:         24
        .size:           8
        .value_kind:     global_buffer
      - .actual_access:  read_only
        .address_space:  global
        .offset:         32
        .size:           8
        .value_kind:     global_buffer
      - .offset:         40
        .size:           8
        .value_kind:     by_value
      - .actual_access:  read_only
        .address_space:  global
        .offset:         48
        .size:           8
        .value_kind:     global_buffer
      - .actual_access:  read_only
        .address_space:  global
        .offset:         56
        .size:           8
        .value_kind:     global_buffer
      - .offset:         64
        .size:           4
        .value_kind:     by_value
      - .actual_access:  read_only
        .address_space:  global
        .offset:         72
        .size:           8
        .value_kind:     global_buffer
      - .actual_access:  read_only
        .address_space:  global
        .offset:         80
        .size:           8
        .value_kind:     global_buffer
      - .actual_access:  read_only
        .address_space:  global
        .offset:         88
        .size:           8
        .value_kind:     global_buffer
      - .actual_access:  write_only
        .address_space:  global
        .offset:         96
        .size:           8
        .value_kind:     global_buffer
    .group_segment_fixed_size: 0
    .kernarg_segment_align: 8
    .kernarg_segment_size: 104
    .language:       OpenCL C
    .language_version:
      - 2
      - 0
    .max_flat_workgroup_size: 160
    .name:           fft_rtc_back_len3200_factors_10_10_4_4_2_wgs_160_tpt_160_halfLds_sp_op_CI_CI_sbrr_dirReg
    .private_segment_fixed_size: 0
    .sgpr_count:     33
    .sgpr_spill_count: 0
    .symbol:         fft_rtc_back_len3200_factors_10_10_4_4_2_wgs_160_tpt_160_halfLds_sp_op_CI_CI_sbrr_dirReg.kd
    .uniform_work_group_size: 1
    .uses_dynamic_stack: false
    .vgpr_count:     97
    .vgpr_spill_count: 0
    .wavefront_size: 32
    .workgroup_processor_mode: 1
amdhsa.target:   amdgcn-amd-amdhsa--gfx1030
amdhsa.version:
  - 1
  - 2
...

	.end_amdgpu_metadata
